;; amdgpu-corpus repo=ROCm/aiter kind=harvested arch=n/a opt=n/a

/root/src/amdgpu-assembly/repos/ROCm__aiter/hsa/gfx942/fmoe_2stages/fmoe_stage1_bf16_pertokenFp8_g1u1_160x64_pf2.co:	file format elf64-amdgpu

Disassembly of section .text:

0000000000002a00 <_ZN5aiter44fmoe_stage1_bf16_pertokenFp8_g1u1_160x64_pf2E>:
	s_and_b32 s1, s1, 0xffff                                   // 000000002A00: 8601FF01 0000FFFF
	s_load_dwordx2 s[8:9], s[0:1], 0x0                         // 000000002A08: C0060200 00000000
	s_load_dwordx2 s[20:21], s[0:1], 0x10                      // 000000002A10: C0060500 00000010
	s_load_dwordx2 s[24:25], s[0:1], 0x20                      // 000000002A18: C0060600 00000020
	s_load_dwordx2 s[48:49], s[0:1], 0x30                      // 000000002A20: C0060C00 00000030
	s_load_dwordx2 s[28:29], s[0:1], 0x40                      // 000000002A28: C0060700 00000040
	s_load_dwordx2 s[32:33], s[0:1], 0x50                      // 000000002A30: C0060800 00000050
	s_load_dwordx2 s[36:37], s[0:1], 0x60                      // 000000002A38: C0060900 00000060
	s_load_dwordx2 s[12:13], s[0:1], 0x70                      // 000000002A40: C0060300 00000070
	s_load_dwordx2 s[44:45], s[0:1], 0x80                      // 000000002A48: C0060B00 00000080
	s_mov_b32 s89, 0                                           // 000000002A50: BED90080
	s_load_dword s64, s[0:1], 0x90                             // 000000002A54: C0021000 00000090
	s_load_dword s65, s[0:1], 0xa0                             // 000000002A5C: C0021040 000000A0
	s_load_dword s66, s[0:1], 0xb0                             // 000000002A64: C0021080 000000B0
	s_load_dword s67, s[0:1], 0xc0                             // 000000002A6C: C00210C0 000000C0
	s_load_dword s68, s[0:1], 0xd0                             // 000000002A74: C0021100 000000D0
	s_load_dword s69, s[0:1], 0xe0                             // 000000002A7C: C0021140 000000E0
	s_load_dword s71, s[0:1], 0xf0                             // 000000002A84: C00211C0 000000F0
	s_load_dword s72, s[0:1], 0x100                            // 000000002A8C: C0021200 00000100
	s_load_dword s74, s[0:1], 0x110                            // 000000002A94: C0021280 00000110
	s_load_dword s76, s[0:1], 0x120                            // 000000002A9C: C0021300 00000120
	s_load_dword s56, s[0:1], 0x130                            // 000000002AA4: C0020E00 00000130
	s_load_dword s88, s[0:1], 0x140                            // 000000002AAC: C0021600 00000140
	s_load_dword s89, s[0:1], 0x150                            // 000000002AB4: C0021640 00000150
	v_lshrrev_b32_e32 v1, 10, v0                               // 000000002ABC: 2002008A
	v_lshrrev_b32_e32 v2, 10, v1                               // 000000002AC0: 2004028A
	v_and_b32_e32 v2, 0x3ff, v2                                // 000000002AC4: 260404FF 000003FF
	v_and_b32_e32 v1, 0x3ff, v1                                // 000000002ACC: 260202FF 000003FF
	v_and_b32_e32 v0, 0x3ff, v0                                // 000000002AD4: 260000FF 000003FF
	v_lshrrev_b32_e32 v3, 6, v0                                // 000000002ADC: 20060086
	v_and_b32_e32 v0, 63, v0                                   // 000000002AE0: 260000BF
	s_mov_b32 s2, s2                                           // 000000002AE4: BE820002
	s_mov_b32 s3, s3                                           // 000000002AE8: BE830003
	s_mov_b32 s4, s4                                           // 000000002AEC: BE840004
	v_readfirstlane_b32 s7, v3                                 // 000000002AF0: 7E0E0503
	s_waitcnt lgkmcnt(0)                                       // 000000002AF4: BF8CC07F
	s_and_b32 s49, s49, 0xffff                                 // 000000002AF8: 8631FF31 0000FFFF
	s_load_dword s48, s[48:49], 0x0                            // 000000002B00: C0020C18 00000000
	s_and_b32 s45, s45, 0xffff                                 // 000000002B08: 862DFF2D 0000FFFF
	s_and_b32 s9, s9, 0xffff                                   // 000000002B10: 8609FF09 0000FFFF
	s_mul_i32 s60, s66, s68                                    // 000000002B18: 923C4442
	s_mul_i32 s61, s66, 4                                      // 000000002B1C: 923D8442
	s_mov_b32 s22, s60                                         // 000000002B20: BE96003C
	s_mov_b32 s26, -16                                         // 000000002B24: BE9A00D0
	s_mov_b32 s30, s61                                         // 000000002B28: BE9E003D
	s_mov_b32 s14, 0x280                                       // 000000002B2C: BE8E00FF 00000280
	s_mov_b32 s38, -16                                         // 000000002B34: BEA600D0
	s_mov_b32 s10, -16                                         // 000000002B38: BE8A00D0
	s_mov_b32 s34, 0x100                                       // 000000002B3C: BEA200FF 00000100
	s_mov_b32 s23, 0x20000                                     // 000000002B44: BE9700FF 00020000
	s_mov_b32 s27, 0x20000                                     // 000000002B4C: BE9B00FF 00020000
	s_mov_b32 s31, 0x20000                                     // 000000002B54: BE9F00FF 00020000
	s_mov_b32 s35, 0x20000                                     // 000000002B5C: BEA300FF 00020000
	s_mov_b32 s15, 0x20000                                     // 000000002B64: BE8F00FF 00020000
	s_mov_b32 s39, 0x20000                                     // 000000002B6C: BEA700FF 00020000
	s_mov_b32 s11, 0x20000                                     // 000000002B74: BE8B00FF 00020000
	s_and_b32 s21, s21, 0xffff                                 // 000000002B7C: 8615FF15 0000FFFF
	s_and_b32 s25, s25, 0xffff                                 // 000000002B84: 8619FF19 0000FFFF
	s_and_b32 s29, s29, 0xffff                                 // 000000002B8C: 861DFF1D 0000FFFF
	s_and_b32 s33, s33, 0xffff                                 // 000000002B94: 8621FF21 0000FFFF
	s_and_b32 s13, s13, 0xffff                                 // 000000002B9C: 860DFF0D 0000FFFF
	s_and_b32 s37, s37, 0xffff                                 // 000000002BA4: 8625FF25 0000FFFF
	s_or_b32 s21, s21, 0x40000                                 // 000000002BAC: 8715FF15 00040000
	s_or_b32 s25, s25, 0x40000                                 // 000000002BB4: 8719FF19 00040000
	s_or_b32 s29, s29, 0x40000                                 // 000000002BBC: 871DFF1D 00040000
	s_or_b32 s33, s33, 0x40000                                 // 000000002BC4: 8721FF21 00040000
	s_or_b32 s13, s13, 0x40000                                 // 000000002BCC: 870DFF0D 00040000
	s_or_b32 s37, s37, 0x40000                                 // 000000002BD4: 8725FF25 00040000
	v_accvgpr_write_b32 a175, 0                                // 000000002BDC: D3D940AF 18000080
	v_mov_b32_e32 v171, 0                                      // 000000002BE4: 7F560280
	s_waitcnt lgkmcnt(0)                                       // 000000002BE8: BF8CC07F
	s_mul_i32 s60, s3, 0xa0                                    // 000000002BEC: 923CFF03 000000A0
	s_cmp_lt_i32 s60, s48                                      // 000000002BF4: BF04303C
	s_cbranch_scc0 label_2A6B                                  // 000000002BF8: BF8429E9
	s_mov_b32 s80, 0                                           // 000000002BFC: BED00080
	s_lshr_b32 s81, s64, s88                                   // 000000002C00: 8F515840
	s_mul_i32 s60, s3, 4                                       // 000000002C04: 923C8403
	s_add_u32 s44, s60, s44                                    // 000000002C08: 802C2C3C
	s_addc_u32 s45, 0, s45                                     // 000000002C0C: 822D2D80
	s_load_dword s5, s[44:45], 0x0                             // 000000002C10: C0020156 00000000
	s_mul_i32 s60, s3, 0xa0                                    // 000000002C18: 923CFF03 000000A0
	s_mul_i32 s60, 4, s60                                      // 000000002C20: 923C3C84
	s_add_u32 s12, s60, s12                                    // 000000002C24: 800C0C3C
	s_addc_u32 s13, 0, s13                                     // 000000002C28: 820D0D80
	v_and_b32_e32 v4, 15, v0                                   // 000000002C2C: 2608008F
	v_lshlrev_b32_e32 v4, 2, v4                                // 000000002C30: 24080882
	buffer_load_dword v28, v4, s[12:15], 0 offen               // 000000002C34: E0501000 80031C04
	v_add_u32_e32 v4, 64, v4                                   // 000000002C3C: 680808C0
	buffer_load_dword v29, v4, s[12:15], 0 offen               // 000000002C40: E0501000 80031D04
	v_add_u32_e32 v4, 64, v4                                   // 000000002C48: 680808C0
	buffer_load_dword v30, v4, s[12:15], 0 offen               // 000000002C4C: E0501000 80031E04
	v_add_u32_e32 v4, 64, v4                                   // 000000002C54: 680808C0
	buffer_load_dword v31, v4, s[12:15], 0 offen               // 000000002C58: E0501000 80031F04
	v_add_u32_e32 v4, 64, v4                                   // 000000002C60: 680808C0
	buffer_load_dword v32, v4, s[12:15], 0 offen               // 000000002C64: E0501000 80032004
	v_add_u32_e32 v4, 64, v4                                   // 000000002C6C: 680808C0
	buffer_load_dword v33, v4, s[12:15], 0 offen               // 000000002C70: E0501000 80032104
	v_add_u32_e32 v4, 64, v4                                   // 000000002C78: 680808C0
	buffer_load_dword v34, v4, s[12:15], 0 offen               // 000000002C7C: E0501000 80032204
	v_add_u32_e32 v4, 64, v4                                   // 000000002C84: 680808C0
	buffer_load_dword v35, v4, s[12:15], 0 offen               // 000000002C88: E0501000 80032304
	v_add_u32_e32 v4, 64, v4                                   // 000000002C90: 680808C0
	buffer_load_dword v36, v4, s[12:15], 0 offen               // 000000002C94: E0501000 80032404
	v_add_u32_e32 v4, 64, v4                                   // 000000002C9C: 680808C0
	buffer_load_dword v37, v4, s[12:15], 0 offen               // 000000002CA0: E0501000 80032504
	v_add_u32_e32 v4, 64, v4                                   // 000000002CA8: 680808C0
	s_mul_i32 s60, 4, s7                                       // 000000002CAC: 923C0784
	v_lshlrev_b32_e32 v4, 4, v0                                // 000000002CB0: 24080084
	v_add_u32_e32 v4, s60, v4                                  // 000000002CB4: 6808083C
	buffer_load_dword v3, v4, s[12:15], 0 offen                // 000000002CB8: E0501000 80030304
	v_mov_b32_e32 v92, 0                                       // 000000002CC0: 7EB80280
	v_mov_b32_e32 v132, 0                                      // 000000002CC4: 7F080280
	v_mov_b32_e32 v93, 0                                       // 000000002CC8: 7EBA0280
	v_mov_b32_e32 v133, 0                                      // 000000002CCC: 7F0A0280
	v_mov_b32_e32 v94, 0                                       // 000000002CD0: 7EBC0280
	v_mov_b32_e32 v134, 0                                      // 000000002CD4: 7F0C0280
	v_mov_b32_e32 v95, 0                                       // 000000002CD8: 7EBE0280
	v_mov_b32_e32 v135, 0                                      // 000000002CDC: 7F0E0280
	v_mov_b32_e32 v96, 0                                       // 000000002CE0: 7EC00280
	v_mov_b32_e32 v136, 0                                      // 000000002CE4: 7F100280
	v_mov_b32_e32 v97, 0                                       // 000000002CE8: 7EC20280
	v_mov_b32_e32 v137, 0                                      // 000000002CEC: 7F120280
	v_mov_b32_e32 v98, 0                                       // 000000002CF0: 7EC40280
	v_mov_b32_e32 v138, 0                                      // 000000002CF4: 7F140280
	v_mov_b32_e32 v99, 0                                       // 000000002CF8: 7EC60280
	v_mov_b32_e32 v139, 0                                      // 000000002CFC: 7F160280
	v_mov_b32_e32 v100, 0                                      // 000000002D00: 7EC80280
	v_mov_b32_e32 v140, 0                                      // 000000002D04: 7F180280
	v_mov_b32_e32 v101, 0                                      // 000000002D08: 7ECA0280
	v_mov_b32_e32 v141, 0                                      // 000000002D0C: 7F1A0280
	v_mov_b32_e32 v102, 0                                      // 000000002D10: 7ECC0280
	v_mov_b32_e32 v142, 0                                      // 000000002D14: 7F1C0280
	v_mov_b32_e32 v103, 0                                      // 000000002D18: 7ECE0280
	v_mov_b32_e32 v143, 0                                      // 000000002D1C: 7F1E0280
	v_mov_b32_e32 v104, 0                                      // 000000002D20: 7ED00280
	v_mov_b32_e32 v144, 0                                      // 000000002D24: 7F200280
	v_mov_b32_e32 v105, 0                                      // 000000002D28: 7ED20280
	v_mov_b32_e32 v145, 0                                      // 000000002D2C: 7F220280
	v_mov_b32_e32 v106, 0                                      // 000000002D30: 7ED40280
	v_mov_b32_e32 v146, 0                                      // 000000002D34: 7F240280
	v_mov_b32_e32 v107, 0                                      // 000000002D38: 7ED60280
	v_mov_b32_e32 v147, 0                                      // 000000002D3C: 7F260280
	v_mov_b32_e32 v108, 0                                      // 000000002D40: 7ED80280
	v_mov_b32_e32 v148, 0                                      // 000000002D44: 7F280280
	v_mov_b32_e32 v109, 0                                      // 000000002D48: 7EDA0280
	v_mov_b32_e32 v149, 0                                      // 000000002D4C: 7F2A0280
	v_mov_b32_e32 v110, 0                                      // 000000002D50: 7EDC0280
	v_mov_b32_e32 v150, 0                                      // 000000002D54: 7F2C0280
	v_mov_b32_e32 v111, 0                                      // 000000002D58: 7EDE0280
	v_mov_b32_e32 v151, 0                                      // 000000002D5C: 7F2E0280
	v_mov_b32_e32 v112, 0                                      // 000000002D60: 7EE00280
	v_mov_b32_e32 v152, 0                                      // 000000002D64: 7F300280
	v_mov_b32_e32 v113, 0                                      // 000000002D68: 7EE20280
	v_mov_b32_e32 v153, 0                                      // 000000002D6C: 7F320280
	v_mov_b32_e32 v114, 0                                      // 000000002D70: 7EE40280
	v_mov_b32_e32 v154, 0                                      // 000000002D74: 7F340280
	v_mov_b32_e32 v115, 0                                      // 000000002D78: 7EE60280
	v_mov_b32_e32 v155, 0                                      // 000000002D7C: 7F360280
	v_mov_b32_e32 v116, 0                                      // 000000002D80: 7EE80280
	v_mov_b32_e32 v156, 0                                      // 000000002D84: 7F380280
	v_mov_b32_e32 v117, 0                                      // 000000002D88: 7EEA0280
	v_mov_b32_e32 v157, 0                                      // 000000002D8C: 7F3A0280
	v_mov_b32_e32 v118, 0                                      // 000000002D90: 7EEC0280
	v_mov_b32_e32 v158, 0                                      // 000000002D94: 7F3C0280
	v_mov_b32_e32 v119, 0                                      // 000000002D98: 7EEE0280
	v_mov_b32_e32 v159, 0                                      // 000000002D9C: 7F3E0280
	v_mov_b32_e32 v120, 0                                      // 000000002DA0: 7EF00280
	v_mov_b32_e32 v160, 0                                      // 000000002DA4: 7F400280
	v_mov_b32_e32 v121, 0                                      // 000000002DA8: 7EF20280
	v_mov_b32_e32 v161, 0                                      // 000000002DAC: 7F420280
	v_mov_b32_e32 v122, 0                                      // 000000002DB0: 7EF40280
	v_mov_b32_e32 v162, 0                                      // 000000002DB4: 7F440280
	v_mov_b32_e32 v123, 0                                      // 000000002DB8: 7EF60280
	v_mov_b32_e32 v163, 0                                      // 000000002DBC: 7F460280
	v_mov_b32_e32 v124, 0                                      // 000000002DC0: 7EF80280
	v_mov_b32_e32 v164, 0                                      // 000000002DC4: 7F480280
	v_mov_b32_e32 v125, 0                                      // 000000002DC8: 7EFA0280
	v_mov_b32_e32 v165, 0                                      // 000000002DCC: 7F4A0280
	v_mov_b32_e32 v126, 0                                      // 000000002DD0: 7EFC0280
	v_mov_b32_e32 v166, 0                                      // 000000002DD4: 7F4C0280
	v_mov_b32_e32 v127, 0                                      // 000000002DD8: 7EFE0280
	v_mov_b32_e32 v167, 0                                      // 000000002DDC: 7F4E0280
	v_mov_b32_e32 v128, 0                                      // 000000002DE0: 7F000280
	v_mov_b32_e32 v168, 0                                      // 000000002DE4: 7F500280
	v_mov_b32_e32 v129, 0                                      // 000000002DE8: 7F020280
	v_mov_b32_e32 v169, 0                                      // 000000002DEC: 7F520280
	v_mov_b32_e32 v130, 0                                      // 000000002DF0: 7F040280
	v_mov_b32_e32 v170, 0                                      // 000000002DF4: 7F540280
	v_mov_b32_e32 v131, 0                                      // 000000002DF8: 7F060280
	v_mov_b32_e32 v171, 0                                      // 000000002DFC: 7F560280
	s_mul_i32 s60, s2, 0x80                                    // 000000002E00: 923CFF02 00000080
	s_cmp_eq_u32 s88, 0                                        // 000000002E08: BF068058
	s_cselect_b32 s61, 1, 2                                    // 000000002E0C: 853D8281
	s_mul_i32 s60, s60, s61                                    // 000000002E10: 923C3D3C
	s_mov_b32 s90, s8                                          // 000000002E14: BEDA0008
	s_mov_b32 s91, s9                                          // 000000002E18: BEDB0009
	s_add_u32 s8, s60, s8                                      // 000000002E1C: 8008083C
	s_addc_u32 s9, 0, s9                                       // 000000002E20: 82090980
	v_lshrrev_b32_e32 v4, 4, v0                                // 000000002E24: 20080084
	v_mul_lo_u32 v20, 34, v4                                   // 000000002E28: D2850014 000208A2
	v_and_b32_e32 v4, 15, v0                                   // 000000002E30: 2608008F
	v_mul_lo_u32 v5, 2, v4                                     // 000000002E34: D2850005 00020882
	v_add_u32_e32 v20, v5, v20                                 // 000000002E3C: 68282905
	s_mul_i32 s60, s7, 0x88                                    // 000000002E40: 923CFF07 00000088
	v_add_u32_e32 v20, s60, v20                                // 000000002E48: 6828283C
	v_lshlrev_b32_e32 v20, 2, v20                              // 000000002E4C: 24282882
	v_and_b32_e32 v4, 31, v0                                   // 000000002E50: 2608009F
	v_lshrrev_b32_e32 v4, 1, v4                                // 000000002E54: 20080881
	v_mul_lo_u32 v21, 34, v4                                   // 000000002E58: D2850015 000208A2
	v_lshrrev_b32_e32 v4, 5, v0                                // 000000002E60: 20080085
	v_mul_lo_u32 v4, 8, v4                                     // 000000002E64: D2850004 00020888
	v_add_u32_e32 v21, v21, v4                                 // 000000002E6C: 682A0915
	v_and_b32_e32 v5, 1, v0                                    // 000000002E70: 260A0081
	v_add_u32_e32 v21, v5, v21                                 // 000000002E74: 682A2B05
	s_mul_i32 s60, s7, 2                                       // 000000002E78: 923C8207
	v_add_u32_e32 v21, s60, v21                                // 000000002E7C: 682A2A3C
	v_lshlrev_b32_e32 v21, 2, v21                              // 000000002E80: 242A2A82
	s_mul_i32 s60, s7, 0x1420                                  // 000000002E84: 923CFF07 00001420
	s_add_u32 s48, 0, s60                                      // 000000002E8C: 80303C80
	s_add_u32 s49, 0x5080, s48                                 // 000000002E90: 803130FF 00005080
	v_lshrrev_b32_e32 v4, 4, v0                                // 000000002E98: 20080084
	v_lshlrev_b32_e32 v5, 2, v4                                // 000000002E9C: 240A0882
	v_and_b32_e32 v4, 15, v0                                   // 000000002EA0: 2608008F
	v_lshrrev_b32_e32 v6, 2, v4                                // 000000002EA4: 200C0882
	v_lshlrev_b32_e32 v6, 5, v6                                // 000000002EA8: 240C0C85
	v_add_u32_e32 v5, v6, v5                                   // 000000002EAC: 680A0B06
	v_and_b32_e32 v4, 3, v0                                    // 000000002EB0: 26080083
	v_mul_u32_u24_e32 v6, 0x508, v4                            // 000000002EB4: 100C08FF 00000508
	v_add_u32_e32 v5, v6, v5                                   // 000000002EBC: 680A0B06
	v_lshlrev_b32_e32 v2, 2, v5                                // 000000002EC0: 24040A82
	s_waitcnt lgkmcnt(0)                                       // 000000002EC4: BF8CC07F
	s_mul_i32 s60, s2, 64                                      // 000000002EC8: 923CC002
	s_mul_i32 s60, s60, s69                                    // 000000002ECC: 923C453C
	s_mul_i32 s61, s5, s72                                     // 000000002ED0: 923D4805
	s_add_u32 s60, s61, s60                                    // 000000002ED4: 803C3C3D
	s_add_u32 s24, s60, s24                                    // 000000002ED8: 8018183C
	s_addc_u32 s25, 0, s25                                     // 000000002EDC: 82191980
	s_lshr_b32 s60, s64, s88                                   // 000000002EE0: 8F3C5840
	s_mul_i32 s60, s4, s60                                     // 000000002EE4: 923C3C04
	s_lshr_b32 s60, s60, 7                                     // 000000002EE8: 8F3C873C
	s_mul_i32 s60, s60, 0x800                                  // 000000002EEC: 923CFF3C 00000800
	s_add_u32 s24, s60, s24                                    // 000000002EF4: 8018183C
	s_addc_u32 s25, 0, s25                                     // 000000002EF8: 82191980
	s_lshr_b32 s60, s69, s88                                   // 000000002EFC: 8F3C5845
	s_mul_i32 s60, s4, s60                                     // 000000002F00: 923C3C04
	s_add_u32 s20, s60, s20                                    // 000000002F04: 8014143C
	s_addc_u32 s21, 0, s21                                     // 000000002F08: 82151580
	s_mul_i32 s60, s7, 16                                      // 000000002F0C: 923C9007
	s_mul_i32 s60, s60, s69                                    // 000000002F10: 923C453C
	v_lshlrev_b32_e32 v88, 4, v0                               // 000000002F14: 24B00084
	v_add_u32_e32 v88, s60, v88                                // 000000002F18: 68B0B03C
	s_mul_i32 s60, 64, s69                                     // 000000002F1C: 923C45C0
	s_mov_b32 s84, s24                                         // 000000002F20: BED40018
	s_mov_b32 s85, s25                                         // 000000002F24: BED50019
	s_mov_b32 s86, s26                                         // 000000002F28: BED6001A
	s_mov_b32 s87, s27                                         // 000000002F2C: BED7001B
	s_mul_i32 s60, s69, s65                                    // 000000002F30: 923C4145
	s_add_u32 s84, s60, s84                                    // 000000002F34: 8054543C
	s_addc_u32 s85, 0, s85                                     // 000000002F38: 82555580
	v_lshrrev_b32_e32 v4, 4, v0                                // 000000002F3C: 20080084
	v_lshlrev_b32_e32 v5, 2, v4                                // 000000002F40: 240A0882
	v_and_b32_e32 v4, 15, v0                                   // 000000002F44: 2608008F
	v_lshrrev_b32_e32 v6, 2, v4                                // 000000002F48: 200C0882
	v_lshlrev_b32_e32 v6, 6, v6                                // 000000002F4C: 240C0C86
	v_add_u32_e32 v5, v6, v5                                   // 000000002F50: 680A0B06
	v_and_b32_e32 v4, 3, v0                                    // 000000002F54: 26080083
	v_add_u32_e32 v5, v4, v5                                   // 000000002F58: 680A0B04
	v_lshlrev_b32_e32 v22, 2, v5                               // 000000002F5C: 242C0A82
	s_mul_i32 s60, s7, 16                                      // 000000002F60: 923C9007
	s_mul_i32 s60, s60, 4                                      // 000000002F64: 923C843C
	v_add_u32_e32 v22, s60, v22                                // 000000002F68: 682C2C3C
	s_mul_i32 s60, s2, 64                                      // 000000002F6C: 923CC002
	s_mul_i32 s60, s60, 4                                      // 000000002F70: 923C843C
	s_mul_i32 s61, s5, s74                                     // 000000002F74: 923D4A05
	s_add_u32 s61, s61, s60                                    // 000000002F78: 803D3C3D
	s_add_u32 s32, s61, s32                                    // 000000002F7C: 8020203D
	s_addc_u32 s33, 0, s33                                     // 000000002F80: 82212180
	s_mov_b32 s57, 0x80                                        // 000000002F84: BEB900FF 00000080
	s_mov_b32 s58, 0x800                                       // 000000002F8C: BEBA00FF 00000800
	s_mov_b32 s83, s58                                         // 000000002F94: BED3003A
	s_mov_b32 s52, 0x7060302                                   // 000000002F98: BEB400FF 07060302
	s_mov_b32 s53, 0x400                                       // 000000002FA0: BEB500FF 00000400
	s_mov_b32 s54, 0x40100                                     // 000000002FA8: BEB600FF 00040100
	s_mov_b32 s55, 0x4020100                                   // 000000002FB0: BEB700FF 04020100
	s_mov_b32 s6, 0x3fb8aa3b                                   // 000000002FB8: BE8600FF 3FB8AA3B
	s_mov_b32 s78, 0xbd92220c                                  // 000000002FC0: BECE00FF BD92220C
	s_mov_b32 s79, 0xbd92220c                                  // 000000002FC8: BECF00FF BD92220C
	s_mov_b32 m0, s48                                          // 000000002FD0: BEFC0030
	v_mov_b32_e32 v1, 0xbfcc4231                               // 000000002FD4: 7E0202FF BFCC4231
	v_mov_b32_e32 v17, 0xffff0000                              // 000000002FDC: 7E2202FF FFFF0000
	v_mov_b32_e32 v18, 0x7fff0000                              // 000000002FE4: 7E2402FF 7FFF0000
	v_mov_b32_e32 v19, 0x7fff                                  // 000000002FEC: 7E2602FF 00007FFF
	s_waitcnt vmcnt(0) expcnt(0) lgkmcnt(0)                    // 000000002FF4: BF8C0000
	v_lshrrev_b32_e32 v4, 5, v0                                // 000000002FF8: 20080085
	v_xor_b32_e32 v5, 1, v4                                    // 000000002FFC: 2A0A0881
	v_readlane_b32 s82, v3, 0                                  // 000000003000: D2890052 00010103
	s_and_b32 s82, s82, 0xffffff                               // 000000003008: 8652FF52 00FFFFFF
	v_mul_lo_u32 v6, v5, s82                                   // 000000003010: D2850006 0000A505
	v_readlane_b32 s82, v3, 1                                  // 000000003018: D2890052 00010303
	s_and_b32 s82, s82, 0xffffff                               // 000000003020: 8652FF52 00FFFFFF
	v_mul_lo_u32 v7, v4, s82                                   // 000000003028: D2850007 0000A504
	v_add_u32_e32 v68, v6, v7                                  // 000000003030: 68880F06
	v_mul_lo_u32 v68, v68, s68                                 // 000000003034: D2850044 00008944
	v_readlane_b32 s82, v3, 2                                  // 00000000303C: D2890052 00010503
	s_and_b32 s82, s82, 0xffffff                               // 000000003044: 8652FF52 00FFFFFF
	v_mul_lo_u32 v6, v5, s82                                   // 00000000304C: D2850006 0000A505
	v_readlane_b32 s82, v3, 3                                  // 000000003054: D2890052 00010703
	s_and_b32 s82, s82, 0xffffff                               // 00000000305C: 8652FF52 00FFFFFF
	v_mul_lo_u32 v7, v4, s82                                   // 000000003064: D2850007 0000A504
	v_add_u32_e32 v69, v6, v7                                  // 00000000306C: 688A0F06
	v_mul_lo_u32 v69, v69, s68                                 // 000000003070: D2850045 00008945
	v_readlane_b32 s82, v3, 4                                  // 000000003078: D2890052 00010903
	s_and_b32 s82, s82, 0xffffff                               // 000000003080: 8652FF52 00FFFFFF
	v_mul_lo_u32 v6, v5, s82                                   // 000000003088: D2850006 0000A505
	v_readlane_b32 s82, v3, 5                                  // 000000003090: D2890052 00010B03
	s_and_b32 s82, s82, 0xffffff                               // 000000003098: 8652FF52 00FFFFFF
	v_mul_lo_u32 v7, v4, s82                                   // 0000000030A0: D2850007 0000A504
	v_add_u32_e32 v70, v6, v7                                  // 0000000030A8: 688C0F06
	v_mul_lo_u32 v70, v70, s68                                 // 0000000030AC: D2850046 00008946
	v_readlane_b32 s82, v3, 6                                  // 0000000030B4: D2890052 00010D03
	s_and_b32 s82, s82, 0xffffff                               // 0000000030BC: 8652FF52 00FFFFFF
	v_mul_lo_u32 v6, v5, s82                                   // 0000000030C4: D2850006 0000A505
	v_readlane_b32 s82, v3, 7                                  // 0000000030CC: D2890052 00010F03
	s_and_b32 s82, s82, 0xffffff                               // 0000000030D4: 8652FF52 00FFFFFF
	v_mul_lo_u32 v7, v4, s82                                   // 0000000030DC: D2850007 0000A504
	v_add_u32_e32 v71, v6, v7                                  // 0000000030E4: 688E0F06
	v_mul_lo_u32 v71, v71, s68                                 // 0000000030E8: D2850047 00008947
	v_readlane_b32 s82, v3, 8                                  // 0000000030F0: D2890052 00011103
	s_and_b32 s82, s82, 0xffffff                               // 0000000030F8: 8652FF52 00FFFFFF
	v_mul_lo_u32 v6, v5, s82                                   // 000000003100: D2850006 0000A505
	v_readlane_b32 s82, v3, 9                                  // 000000003108: D2890052 00011303
	s_and_b32 s82, s82, 0xffffff                               // 000000003110: 8652FF52 00FFFFFF
	v_mul_lo_u32 v7, v4, s82                                   // 000000003118: D2850007 0000A504
	v_add_u32_e32 v72, v6, v7                                  // 000000003120: 68900F06
	v_mul_lo_u32 v72, v72, s68                                 // 000000003124: D2850048 00008948
	v_readlane_b32 s82, v3, 10                                 // 00000000312C: D2890052 00011503
	s_and_b32 s82, s82, 0xffffff                               // 000000003134: 8652FF52 00FFFFFF
	v_mul_lo_u32 v6, v5, s82                                   // 00000000313C: D2850006 0000A505
	v_readlane_b32 s82, v3, 11                                 // 000000003144: D2890052 00011703
	s_and_b32 s82, s82, 0xffffff                               // 00000000314C: 8652FF52 00FFFFFF
	v_mul_lo_u32 v7, v4, s82                                   // 000000003154: D2850007 0000A504
	v_add_u32_e32 v73, v6, v7                                  // 00000000315C: 68920F06
	v_mul_lo_u32 v73, v73, s68                                 // 000000003160: D2850049 00008949
	v_readlane_b32 s82, v3, 12                                 // 000000003168: D2890052 00011903
	s_and_b32 s82, s82, 0xffffff                               // 000000003170: 8652FF52 00FFFFFF
	v_mul_lo_u32 v6, v5, s82                                   // 000000003178: D2850006 0000A505
	v_readlane_b32 s82, v3, 13                                 // 000000003180: D2890052 00011B03
	s_and_b32 s82, s82, 0xffffff                               // 000000003188: 8652FF52 00FFFFFF
	v_mul_lo_u32 v7, v4, s82                                   // 000000003190: D2850007 0000A504
	v_add_u32_e32 v74, v6, v7                                  // 000000003198: 68940F06
	v_mul_lo_u32 v74, v74, s68                                 // 00000000319C: D285004A 0000894A
	v_readlane_b32 s82, v3, 14                                 // 0000000031A4: D2890052 00011D03
	s_and_b32 s82, s82, 0xffffff                               // 0000000031AC: 8652FF52 00FFFFFF
	v_mul_lo_u32 v6, v5, s82                                   // 0000000031B4: D2850006 0000A505
	v_readlane_b32 s82, v3, 15                                 // 0000000031BC: D2890052 00011F03
	s_and_b32 s82, s82, 0xffffff                               // 0000000031C4: 8652FF52 00FFFFFF
	v_mul_lo_u32 v7, v4, s82                                   // 0000000031CC: D2850007 0000A504
	v_add_u32_e32 v75, v6, v7                                  // 0000000031D4: 68960F06
	v_mul_lo_u32 v75, v75, s68                                 // 0000000031D8: D285004B 0000894B
	v_readlane_b32 s82, v3, 16                                 // 0000000031E0: D2890052 00012103
	s_and_b32 s82, s82, 0xffffff                               // 0000000031E8: 8652FF52 00FFFFFF
	v_mul_lo_u32 v6, v5, s82                                   // 0000000031F0: D2850006 0000A505
	v_readlane_b32 s82, v3, 17                                 // 0000000031F8: D2890052 00012303
	s_and_b32 s82, s82, 0xffffff                               // 000000003200: 8652FF52 00FFFFFF
	v_mul_lo_u32 v7, v4, s82                                   // 000000003208: D2850007 0000A504
	v_add_u32_e32 v76, v6, v7                                  // 000000003210: 68980F06
	v_mul_lo_u32 v76, v76, s68                                 // 000000003214: D285004C 0000894C
	v_readlane_b32 s82, v3, 18                                 // 00000000321C: D2890052 00012503
	s_and_b32 s82, s82, 0xffffff                               // 000000003224: 8652FF52 00FFFFFF
	v_mul_lo_u32 v6, v5, s82                                   // 00000000322C: D2850006 0000A505
	v_readlane_b32 s82, v3, 19                                 // 000000003234: D2890052 00012703
	s_and_b32 s82, s82, 0xffffff                               // 00000000323C: 8652FF52 00FFFFFF
	v_mul_lo_u32 v7, v4, s82                                   // 000000003244: D2850007 0000A504
	v_add_u32_e32 v77, v6, v7                                  // 00000000324C: 689A0F06
	v_mul_lo_u32 v77, v77, s68                                 // 000000003250: D285004D 0000894D
	v_readlane_b32 s82, v3, 20                                 // 000000003258: D2890052 00012903
	s_and_b32 s82, s82, 0xffffff                               // 000000003260: 8652FF52 00FFFFFF
	v_mul_lo_u32 v6, v5, s82                                   // 000000003268: D2850006 0000A505
	v_readlane_b32 s82, v3, 21                                 // 000000003270: D2890052 00012B03
	s_and_b32 s82, s82, 0xffffff                               // 000000003278: 8652FF52 00FFFFFF
	v_mul_lo_u32 v7, v4, s82                                   // 000000003280: D2850007 0000A504
	v_add_u32_e32 v78, v6, v7                                  // 000000003288: 689C0F06
	v_mul_lo_u32 v78, v78, s68                                 // 00000000328C: D285004E 0000894E
	v_readlane_b32 s82, v3, 22                                 // 000000003294: D2890052 00012D03
	s_and_b32 s82, s82, 0xffffff                               // 00000000329C: 8652FF52 00FFFFFF
	v_mul_lo_u32 v6, v5, s82                                   // 0000000032A4: D2850006 0000A505
	v_readlane_b32 s82, v3, 23                                 // 0000000032AC: D2890052 00012F03
	s_and_b32 s82, s82, 0xffffff                               // 0000000032B4: 8652FF52 00FFFFFF
	v_mul_lo_u32 v7, v4, s82                                   // 0000000032BC: D2850007 0000A504
	v_add_u32_e32 v79, v6, v7                                  // 0000000032C4: 689E0F06
	v_mul_lo_u32 v79, v79, s68                                 // 0000000032C8: D285004F 0000894F
	v_readlane_b32 s82, v3, 24                                 // 0000000032D0: D2890052 00013103
	s_and_b32 s82, s82, 0xffffff                               // 0000000032D8: 8652FF52 00FFFFFF
	v_mul_lo_u32 v6, v5, s82                                   // 0000000032E0: D2850006 0000A505
	v_readlane_b32 s82, v3, 25                                 // 0000000032E8: D2890052 00013303
	s_and_b32 s82, s82, 0xffffff                               // 0000000032F0: 8652FF52 00FFFFFF
	v_mul_lo_u32 v7, v4, s82                                   // 0000000032F8: D2850007 0000A504
	v_add_u32_e32 v80, v6, v7                                  // 000000003300: 68A00F06
	v_mul_lo_u32 v80, v80, s68                                 // 000000003304: D2850050 00008950
	v_readlane_b32 s82, v3, 26                                 // 00000000330C: D2890052 00013503
	s_and_b32 s82, s82, 0xffffff                               // 000000003314: 8652FF52 00FFFFFF
	v_mul_lo_u32 v6, v5, s82                                   // 00000000331C: D2850006 0000A505
	v_readlane_b32 s82, v3, 27                                 // 000000003324: D2890052 00013703
	s_and_b32 s82, s82, 0xffffff                               // 00000000332C: 8652FF52 00FFFFFF
	v_mul_lo_u32 v7, v4, s82                                   // 000000003334: D2850007 0000A504
	v_add_u32_e32 v81, v6, v7                                  // 00000000333C: 68A20F06
	v_mul_lo_u32 v81, v81, s68                                 // 000000003340: D2850051 00008951
	v_readlane_b32 s82, v3, 28                                 // 000000003348: D2890052 00013903
	s_and_b32 s82, s82, 0xffffff                               // 000000003350: 8652FF52 00FFFFFF
	v_mul_lo_u32 v6, v5, s82                                   // 000000003358: D2850006 0000A505
	v_readlane_b32 s82, v3, 29                                 // 000000003360: D2890052 00013B03
	s_and_b32 s82, s82, 0xffffff                               // 000000003368: 8652FF52 00FFFFFF
	v_mul_lo_u32 v7, v4, s82                                   // 000000003370: D2850007 0000A504
	v_add_u32_e32 v82, v6, v7                                  // 000000003378: 68A40F06
	v_mul_lo_u32 v82, v82, s68                                 // 00000000337C: D2850052 00008952
	v_readlane_b32 s82, v3, 30                                 // 000000003384: D2890052 00013D03
	s_and_b32 s82, s82, 0xffffff                               // 00000000338C: 8652FF52 00FFFFFF
	v_mul_lo_u32 v6, v5, s82                                   // 000000003394: D2850006 0000A505
	v_readlane_b32 s82, v3, 31                                 // 00000000339C: D2890052 00013F03
	s_and_b32 s82, s82, 0xffffff                               // 0000000033A4: 8652FF52 00FFFFFF
	v_mul_lo_u32 v7, v4, s82                                   // 0000000033AC: D2850007 0000A504
	v_add_u32_e32 v83, v6, v7                                  // 0000000033B4: 68A60F06
	v_mul_lo_u32 v83, v83, s68                                 // 0000000033B8: D2850053 00008953
	v_readlane_b32 s82, v3, 32                                 // 0000000033C0: D2890052 00014103
	s_and_b32 s82, s82, 0xffffff                               // 0000000033C8: 8652FF52 00FFFFFF
	v_mul_lo_u32 v6, v5, s82                                   // 0000000033D0: D2850006 0000A505
	v_readlane_b32 s82, v3, 33                                 // 0000000033D8: D2890052 00014303
	s_and_b32 s82, s82, 0xffffff                               // 0000000033E0: 8652FF52 00FFFFFF
	v_mul_lo_u32 v7, v4, s82                                   // 0000000033E8: D2850007 0000A504
	v_add_u32_e32 v84, v6, v7                                  // 0000000033F0: 68A80F06
	v_mul_lo_u32 v84, v84, s68                                 // 0000000033F4: D2850054 00008954
	v_readlane_b32 s82, v3, 34                                 // 0000000033FC: D2890052 00014503
	s_and_b32 s82, s82, 0xffffff                               // 000000003404: 8652FF52 00FFFFFF
	v_mul_lo_u32 v6, v5, s82                                   // 00000000340C: D2850006 0000A505
	v_readlane_b32 s82, v3, 35                                 // 000000003414: D2890052 00014703
	s_and_b32 s82, s82, 0xffffff                               // 00000000341C: 8652FF52 00FFFFFF
	v_mul_lo_u32 v7, v4, s82                                   // 000000003424: D2850007 0000A504
	v_add_u32_e32 v85, v6, v7                                  // 00000000342C: 68AA0F06
	v_mul_lo_u32 v85, v85, s68                                 // 000000003430: D2850055 00008955
	v_readlane_b32 s82, v3, 36                                 // 000000003438: D2890052 00014903
	s_and_b32 s82, s82, 0xffffff                               // 000000003440: 8652FF52 00FFFFFF
	v_mul_lo_u32 v6, v5, s82                                   // 000000003448: D2850006 0000A505
	v_readlane_b32 s82, v3, 37                                 // 000000003450: D2890052 00014B03
	s_and_b32 s82, s82, 0xffffff                               // 000000003458: 8652FF52 00FFFFFF
	v_mul_lo_u32 v7, v4, s82                                   // 000000003460: D2850007 0000A504
	v_add_u32_e32 v86, v6, v7                                  // 000000003468: 68AC0F06
	v_mul_lo_u32 v86, v86, s68                                 // 00000000346C: D2850056 00008956
	v_readlane_b32 s82, v3, 38                                 // 000000003474: D2890052 00014D03
	s_and_b32 s82, s82, 0xffffff                               // 00000000347C: 8652FF52 00FFFFFF
	v_mul_lo_u32 v6, v5, s82                                   // 000000003484: D2850006 0000A505
	v_readlane_b32 s82, v3, 39                                 // 00000000348C: D2890052 00014F03
	s_and_b32 s82, s82, 0xffffff                               // 000000003494: 8652FF52 00FFFFFF
	v_mul_lo_u32 v7, v4, s82                                   // 00000000349C: D2850007 0000A504
	v_add_u32_e32 v87, v6, v7                                  // 0000000034A4: 68AE0F06
	v_mul_lo_u32 v87, v87, s68                                 // 0000000034A8: D2850057 00008957
	v_and_b32_e32 v4, 31, v0                                   // 0000000034B0: 2608009F
	v_lshlrev_b32_e32 v4, 2, v4                                // 0000000034B4: 24080882
	v_add_u32_e32 v68, v68, v4                                 // 0000000034B8: 68880944
	v_add_u32_e32 v69, v69, v4                                 // 0000000034BC: 688A0945
	v_add_u32_e32 v70, v70, v4                                 // 0000000034C0: 688C0946
	v_add_u32_e32 v71, v71, v4                                 // 0000000034C4: 688E0947
	v_add_u32_e32 v72, v72, v4                                 // 0000000034C8: 68900948
	v_add_u32_e32 v73, v73, v4                                 // 0000000034CC: 68920949
	v_add_u32_e32 v74, v74, v4                                 // 0000000034D0: 6894094A
	v_add_u32_e32 v75, v75, v4                                 // 0000000034D4: 6896094B
	v_add_u32_e32 v76, v76, v4                                 // 0000000034D8: 6898094C
	v_add_u32_e32 v77, v77, v4                                 // 0000000034DC: 689A094D
	v_add_u32_e32 v78, v78, v4                                 // 0000000034E0: 689C094E
	v_add_u32_e32 v79, v79, v4                                 // 0000000034E4: 689E094F
	v_add_u32_e32 v80, v80, v4                                 // 0000000034E8: 68A00950
	v_add_u32_e32 v81, v81, v4                                 // 0000000034EC: 68A20951
	v_add_u32_e32 v82, v82, v4                                 // 0000000034F0: 68A40952
	v_add_u32_e32 v83, v83, v4                                 // 0000000034F4: 68A60953
	v_add_u32_e32 v84, v84, v4                                 // 0000000034F8: 68A80954
	v_add_u32_e32 v85, v85, v4                                 // 0000000034FC: 68AA0955
	v_add_u32_e32 v86, v86, v4                                 // 000000003500: 68AC0956
	v_add_u32_e32 v87, v87, v4                                 // 000000003504: 68AE0957
	v_and_b32_e32 v28, 0xffffff, v28                           // 000000003508: 263838FF 00FFFFFF
	v_lshlrev_b32_e32 v28, 2, v28                              // 000000003510: 24383882
	v_and_b32_e32 v29, 0xffffff, v29                           // 000000003514: 263A3AFF 00FFFFFF
	v_lshlrev_b32_e32 v29, 2, v29                              // 00000000351C: 243A3A82
	v_and_b32_e32 v30, 0xffffff, v30                           // 000000003520: 263C3CFF 00FFFFFF
	v_lshlrev_b32_e32 v30, 2, v30                              // 000000003528: 243C3C82
	v_and_b32_e32 v31, 0xffffff, v31                           // 00000000352C: 263E3EFF 00FFFFFF
	v_lshlrev_b32_e32 v31, 2, v31                              // 000000003534: 243E3E82
	v_and_b32_e32 v32, 0xffffff, v32                           // 000000003538: 264040FF 00FFFFFF
	v_lshlrev_b32_e32 v32, 2, v32                              // 000000003540: 24404082
	v_and_b32_e32 v33, 0xffffff, v33                           // 000000003544: 264242FF 00FFFFFF
	v_lshlrev_b32_e32 v33, 2, v33                              // 00000000354C: 24424282
	v_and_b32_e32 v34, 0xffffff, v34                           // 000000003550: 264444FF 00FFFFFF
	v_lshlrev_b32_e32 v34, 2, v34                              // 000000003558: 24444482
	v_and_b32_e32 v35, 0xffffff, v35                           // 00000000355C: 264646FF 00FFFFFF
	v_lshlrev_b32_e32 v35, 2, v35                              // 000000003564: 24464682
	v_and_b32_e32 v36, 0xffffff, v36                           // 000000003568: 264848FF 00FFFFFF
	v_lshlrev_b32_e32 v36, 2, v36                              // 000000003570: 24484882
	v_and_b32_e32 v37, 0xffffff, v37                           // 000000003574: 264A4AFF 00FFFFFF
	v_lshlrev_b32_e32 v37, 2, v37                              // 00000000357C: 244A4A82
	s_lshl_b32 s3, s66, 2                                      // 000000003580: 8E038242
	buffer_load_dword v38, v28, s[28:31], 0 offen              // 000000003584: E0501000 8007261C
	buffer_load_dword v39, v29, s[28:31], 0 offen              // 00000000358C: E0501000 8007271D
	buffer_load_dword v40, v30, s[28:31], 0 offen              // 000000003594: E0501000 8007281E
	buffer_load_dword v41, v31, s[28:31], 0 offen              // 00000000359C: E0501000 8007291F
	buffer_load_dword v42, v32, s[28:31], 0 offen              // 0000000035A4: E0501000 80072A20
	buffer_load_dword v43, v33, s[28:31], 0 offen              // 0000000035AC: E0501000 80072B21
	buffer_load_dword v44, v34, s[28:31], 0 offen              // 0000000035B4: E0501000 80072C22
	buffer_load_dword v45, v35, s[28:31], 0 offen              // 0000000035BC: E0501000 80072D23
	buffer_load_dword v46, v36, s[28:31], 0 offen              // 0000000035C4: E0501000 80072E24
	buffer_load_dword v47, v37, s[28:31], 0 offen              // 0000000035CC: E0501000 80072F25
	buffer_load_dword v24, v22, s[32:35], 0 offen              // 0000000035D4: E0501000 80081816
	s_mul_i32 s60, 4, s65                                      // 0000000035DC: 923C4184
	s_add_u32 s32, s60, s32                                    // 0000000035E0: 8020203C
	s_addc_u32 s33, 0, s33                                     // 0000000035E4: 82212180
	buffer_load_dword v26, v22, s[32:35], 0 offen              // 0000000035E8: E0501000 80081A16
	buffer_load_dword v68, s[20:23], 0 offen lds               // 0000000035F0: E0511000 80050044
	s_add_u32 m0, 0x100, s48                                   // 0000000035F8: 807C30FF 00000100
	buffer_load_dword v69, s[20:23], 0 offen lds               // 000000003600: E0511000 80050045
	s_add_u32 m0, 0x200, s48                                   // 000000003608: 807C30FF 00000200
	buffer_load_dword v70, s[20:23], 0 offen lds               // 000000003610: E0511000 80050046
	s_add_u32 m0, 0x300, s48                                   // 000000003618: 807C30FF 00000300
	;; [unrolled: 2-line block ×5, first 2 shown]
	buffer_load_dword v74, s[20:23], 0 offen lds               // 000000003650: E0511000 8005004A
	s_add_u32 m0, 0x700, s48                                   // 000000003658: 807C30FF 00000700
	buffer_load_dword v75, s[20:23], 0 offen lds               // 000000003660: E0511000 8005004B
	s_add_u32 m0, 0x800, s48                                   // 000000003668: 807C30FF 00000800
	buffer_load_dword v76, s[20:23], 0 offen lds               // 000000003670: E0511000 8005004C
	s_add_u32 m0, 0x900, s48                                   // 000000003678: 807C30FF 00000900
	buffer_load_dword v77, s[20:23], 0 offen lds               // 000000003680: E0511000 8005004D
	s_add_u32 m0, 0xa00, s48                                   // 000000003688: 807C30FF 00000A00
	buffer_load_dword v78, s[20:23], 0 offen lds               // 000000003690: E0511000 8005004E
	s_add_u32 m0, 0xb00, s48                                   // 000000003698: 807C30FF 00000B00
	buffer_load_dword v79, s[20:23], 0 offen lds               // 0000000036A0: E0511000 8005004F
	s_add_u32 m0, 0xc00, s48                                   // 0000000036A8: 807C30FF 00000C00
	buffer_load_dword v80, s[20:23], 0 offen lds               // 0000000036B0: E0511000 80050050
	s_add_u32 m0, 0xd00, s48                                   // 0000000036B8: 807C30FF 00000D00
	buffer_load_dword v81, s[20:23], 0 offen lds               // 0000000036C0: E0511000 80050051
	s_add_u32 m0, 0xe00, s48                                   // 0000000036C8: 807C30FF 00000E00
	buffer_load_dword v82, s[20:23], 0 offen lds               // 0000000036D0: E0511000 80050052
	s_add_u32 m0, 0xf00, s48                                   // 0000000036D8: 807C30FF 00000F00
	buffer_load_dword v83, s[20:23], 0 offen lds               // 0000000036E0: E0511000 80050053
	s_add_u32 m0, 0x1000, s48                                  // 0000000036E8: 807C30FF 00001000
	buffer_load_dword v84, s[20:23], 0 offen lds               // 0000000036F0: E0511000 80050054
	s_add_u32 m0, 0x1100, s48                                  // 0000000036F8: 807C30FF 00001100
	buffer_load_dword v85, s[20:23], 0 offen lds               // 000000003700: E0511000 80050055
	s_add_u32 m0, 0x1200, s48                                  // 000000003708: 807C30FF 00001200
	buffer_load_dword v86, s[20:23], 0 offen lds               // 000000003710: E0511000 80050056
	s_add_u32 m0, 0x1300, s48                                  // 000000003718: 807C30FF 00001300
	buffer_load_dword v87, s[20:23], 0 offen lds               // 000000003720: E0511000 80050057
	s_add_u32 m0, 0, s49                                       // 000000003728: 807C3180
	s_add_u32 s20, s57, s20                                    // 00000000372C: 80141439
	s_addc_u32 s21, 0, s21                                     // 000000003730: 82151580
	buffer_load_dword v68, s[20:23], 0 offen lds               // 000000003734: E0511000 80050044
	s_add_u32 m0, 0x100, s49                                   // 00000000373C: 807C31FF 00000100
	buffer_load_dword v69, s[20:23], 0 offen lds               // 000000003744: E0511000 80050045
	s_add_u32 m0, 0x200, s49                                   // 00000000374C: 807C31FF 00000200
	buffer_load_dword v70, s[20:23], 0 offen lds               // 000000003754: E0511000 80050046
	s_add_u32 m0, 0x300, s49                                   // 00000000375C: 807C31FF 00000300
	buffer_load_dword v71, s[20:23], 0 offen lds               // 000000003764: E0511000 80050047
	s_add_u32 m0, 0x400, s49                                   // 00000000376C: 807C31FF 00000400
	buffer_load_dword v72, s[20:23], 0 offen lds               // 000000003774: E0511000 80050048
	s_add_u32 m0, 0x500, s49                                   // 00000000377C: 807C31FF 00000500
	buffer_load_dword v73, s[20:23], 0 offen lds               // 000000003784: E0511000 80050049
	s_add_u32 m0, 0x600, s49                                   // 00000000378C: 807C31FF 00000600
	buffer_load_dword v74, s[20:23], 0 offen lds               // 000000003794: E0511000 8005004A
	s_add_u32 m0, 0x700, s49                                   // 00000000379C: 807C31FF 00000700
	buffer_load_dword v75, s[20:23], 0 offen lds               // 0000000037A4: E0511000 8005004B
	s_add_u32 m0, 0x800, s49                                   // 0000000037AC: 807C31FF 00000800
	buffer_load_dword v76, s[20:23], 0 offen lds               // 0000000037B4: E0511000 8005004C
	s_add_u32 m0, 0x900, s49                                   // 0000000037BC: 807C31FF 00000900
	buffer_load_dword v77, s[20:23], 0 offen lds               // 0000000037C4: E0511000 8005004D
	s_add_u32 m0, 0xa00, s49                                   // 0000000037CC: 807C31FF 00000A00
	buffer_load_dword v78, s[20:23], 0 offen lds               // 0000000037D4: E0511000 8005004E
	s_add_u32 m0, 0xb00, s49                                   // 0000000037DC: 807C31FF 00000B00
	buffer_load_dword v79, s[20:23], 0 offen lds               // 0000000037E4: E0511000 8005004F
	s_add_u32 m0, 0xc00, s49                                   // 0000000037EC: 807C31FF 00000C00
	buffer_load_dword v80, s[20:23], 0 offen lds               // 0000000037F4: E0511000 80050050
	s_add_u32 m0, 0xd00, s49                                   // 0000000037FC: 807C31FF 00000D00
	buffer_load_dword v81, s[20:23], 0 offen lds               // 000000003804: E0511000 80050051
	s_add_u32 m0, 0xe00, s49                                   // 00000000380C: 807C31FF 00000E00
	buffer_load_dword v82, s[20:23], 0 offen lds               // 000000003814: E0511000 80050052
	s_add_u32 m0, 0xf00, s49                                   // 00000000381C: 807C31FF 00000F00
	buffer_load_dword v83, s[20:23], 0 offen lds               // 000000003824: E0511000 80050053
	s_add_u32 m0, 0x1000, s49                                  // 00000000382C: 807C31FF 00001000
	buffer_load_dword v84, s[20:23], 0 offen lds               // 000000003834: E0511000 80050054
	s_add_u32 m0, 0x1100, s49                                  // 00000000383C: 807C31FF 00001100
	buffer_load_dword v85, s[20:23], 0 offen lds               // 000000003844: E0511000 80050055
	s_add_u32 m0, 0x1200, s49                                  // 00000000384C: 807C31FF 00001200
	buffer_load_dword v86, s[20:23], 0 offen lds               // 000000003854: E0511000 80050056
	s_add_u32 m0, 0x1300, s49                                  // 00000000385C: 807C31FF 00001300
	buffer_load_dword v87, s[20:23], 0 offen lds               // 000000003864: E0511000 80050057
	s_add_u32 m0, 0, s48                                       // 00000000386C: 807C3080
	s_add_u32 s20, s57, s20                                    // 000000003870: 80141439
	s_addc_u32 s21, 0, s21                                     // 000000003874: 82151580
	buffer_load_dwordx4 a[160:163], v88, s[24:27], 0 offen     // 000000003878: E05C1000 8086A058
	buffer_load_dwordx4 a[164:167], v88, s[24:27], 0 offen offset:1024// 000000003880: E05C1400 8086A458
	s_add_u32 s24, s58, s24                                    // 000000003888: 8018183A
	s_addc_u32 s25, 0, s25                                     // 00000000388C: 82191980
	s_waitcnt vmcnt(22)                                        // 000000003890: BF8C4F76
	s_barrier                                                  // 000000003894: BF8A0000
	ds_read_b128 a[0:3], v2                                    // 000000003898: DBFE0000 00000002
	ds_read_b128 a[4:7], v2 offset:64                          // 0000000038A0: DBFE0040 04000002
	ds_read_b128 a[8:11], v2 offset:512                        // 0000000038A8: DBFE0200 08000002
	ds_read_b128 a[12:15], v2 offset:576                       // 0000000038B0: DBFE0240 0C000002
	ds_read_b128 a[16:19], v2 offset:1024                      // 0000000038B8: DBFE0400 10000002
	ds_read_b128 a[20:23], v2 offset:1088                      // 0000000038C0: DBFE0440 14000002
	ds_read_b128 a[24:27], v2 offset:1536                      // 0000000038C8: DBFE0600 18000002
	ds_read_b128 a[28:31], v2 offset:1600                      // 0000000038D0: DBFE0640 1C000002
	ds_read_b128 a[32:35], v2 offset:2048                      // 0000000038D8: DBFE0800 20000002
	ds_read_b128 a[36:39], v2 offset:2112                      // 0000000038E0: DBFE0840 24000002
	ds_read_b128 a[40:43], v2 offset:2560                      // 0000000038E8: DBFE0A00 28000002
	ds_read_b128 a[44:47], v2 offset:2624                      // 0000000038F0: DBFE0A40 2C000002
	ds_read_b128 a[48:51], v2 offset:3072                      // 0000000038F8: DBFE0C00 30000002
	ds_read_b128 a[52:55], v2 offset:3136                      // 000000003900: DBFE0C40 34000002
	ds_read_b128 a[56:59], v2 offset:3584                      // 000000003908: DBFE0E00 38000002
	ds_read_b128 a[60:63], v2 offset:3648                      // 000000003910: DBFE0E40 3C000002
	ds_read_b128 a[64:67], v2 offset:4096                      // 000000003918: DBFE1000 40000002
	ds_read_b128 a[68:71], v2 offset:4160                      // 000000003920: DBFE1040 44000002
	ds_read_b128 a[72:75], v2 offset:4608                      // 000000003928: DBFE1200 48000002
	ds_read_b128 a[76:79], v2 offset:4672                      // 000000003930: DBFE1240 4C000002
	s_cmp_lt_i32 s7, 2                                         // 000000003938: BF048207
	s_cbranch_scc0 label_171F                                  // 00000000393C: BF84134C

0000000000003940 <label_03D0>:
	s_waitcnt vmcnt(0) lgkmcnt(0)                              // 000000003940: BF8C0070
	s_barrier                                                  // 000000003944: BF8A0000
	v_mfma_f32_16x16x32_fp8_fp8 v[92:95], a[160:161], a[0:1], v[92:95]// 000000003948: D3F3005C 1D7201A0
	v_mfma_f32_16x16x32_fp8_fp8 v[92:95], a[162:163], a[2:3], v[92:95]// 000000003950: D3F3005C 1D7205A2
	buffer_load_dwordx4 a[168:171], v88, s[84:87], 0 offen     // 000000003958: E05C1000 8095A858
	v_mfma_f32_16x16x32_fp8_fp8 v[92:95], a[164:165], a[4:5], v[92:95]// 000000003960: D3F3005C 1D7209A4
	v_mfma_f32_16x16x32_fp8_fp8 v[92:95], a[166:167], a[6:7], v[92:95]// 000000003968: D3F3005C 1D720DA6
	v_mfma_f32_16x16x32_fp8_fp8 v[96:99], a[160:161], a[8:9], v[96:99]// 000000003970: D3F30060 1D8211A0
	v_mfma_f32_16x16x32_fp8_fp8 v[96:99], a[162:163], a[10:11], v[96:99]// 000000003978: D3F30060 1D8215A2
	buffer_load_dwordx4 a[172:175], v88, s[84:87], 0 offen offset:1024// 000000003980: E05C1400 8095AC58
	buffer_load_dword v68, s[20:23], 0 offen lds               // 000000003988: E0511000 80050044
	s_add_u32 m0, 0x100, s48                                   // 000000003990: 807C30FF 00000100
	v_mfma_f32_16x16x32_fp8_fp8 v[96:99], a[164:165], a[12:13], v[96:99]// 000000003998: D3F30060 1D8219A4
	v_mfma_f32_16x16x32_fp8_fp8 v[96:99], a[166:167], a[14:15], v[96:99]// 0000000039A0: D3F30060 1D821DA6
	buffer_load_dword v69, s[20:23], 0 offen lds               // 0000000039A8: E0511000 80050045
	s_add_u32 m0, 0x200, s48                                   // 0000000039B0: 807C30FF 00000200
	v_mfma_f32_16x16x32_fp8_fp8 v[100:103], a[160:161], a[16:17], v[100:103]// 0000000039B8: D3F30064 1D9221A0
	v_mfma_f32_16x16x32_fp8_fp8 v[100:103], a[162:163], a[18:19], v[100:103]// 0000000039C0: D3F30064 1D9225A2
	buffer_load_dword v70, s[20:23], 0 offen lds               // 0000000039C8: E0511000 80050046
	s_add_u32 m0, 0x300, s48                                   // 0000000039D0: 807C30FF 00000300
	v_mfma_f32_16x16x32_fp8_fp8 v[100:103], a[164:165], a[20:21], v[100:103]// 0000000039D8: D3F30064 1D9229A4
	v_mfma_f32_16x16x32_fp8_fp8 v[100:103], a[166:167], a[22:23], v[100:103]// 0000000039E0: D3F30064 1D922DA6
	buffer_load_dword v71, s[20:23], 0 offen lds               // 0000000039E8: E0511000 80050047
	s_add_u32 m0, 0x400, s48                                   // 0000000039F0: 807C30FF 00000400
	v_mfma_f32_16x16x32_fp8_fp8 v[104:107], a[160:161], a[24:25], v[104:107]// 0000000039F8: D3F30068 1DA231A0
	v_mfma_f32_16x16x32_fp8_fp8 v[104:107], a[162:163], a[26:27], v[104:107]// 000000003A00: D3F30068 1DA235A2
	buffer_load_dword v72, s[20:23], 0 offen lds               // 000000003A08: E0511000 80050048
	s_add_u32 m0, 0x500, s48                                   // 000000003A10: 807C30FF 00000500
	v_mfma_f32_16x16x32_fp8_fp8 v[104:107], a[164:165], a[28:29], v[104:107]// 000000003A18: D3F30068 1DA239A4
	v_mfma_f32_16x16x32_fp8_fp8 v[104:107], a[166:167], a[30:31], v[104:107]// 000000003A20: D3F30068 1DA23DA6
	buffer_load_dword v73, s[20:23], 0 offen lds               // 000000003A28: E0511000 80050049
	s_add_u32 m0, 0x600, s48                                   // 000000003A30: 807C30FF 00000600
	v_mfma_f32_16x16x32_fp8_fp8 v[108:111], a[160:161], a[32:33], v[108:111]// 000000003A38: D3F3006C 1DB241A0
	v_mfma_f32_16x16x32_fp8_fp8 v[108:111], a[162:163], a[34:35], v[108:111]// 000000003A40: D3F3006C 1DB245A2
	buffer_load_dword v74, s[20:23], 0 offen lds               // 000000003A48: E0511000 8005004A
	s_add_u32 m0, 0x700, s48                                   // 000000003A50: 807C30FF 00000700
	v_mfma_f32_16x16x32_fp8_fp8 v[108:111], a[164:165], a[36:37], v[108:111]// 000000003A58: D3F3006C 1DB249A4
	v_mfma_f32_16x16x32_fp8_fp8 v[108:111], a[166:167], a[38:39], v[108:111]// 000000003A60: D3F3006C 1DB24DA6
	buffer_load_dword v75, s[20:23], 0 offen lds               // 000000003A68: E0511000 8005004B
	s_add_u32 m0, 0x800, s48                                   // 000000003A70: 807C30FF 00000800
	v_mfma_f32_16x16x32_fp8_fp8 v[112:115], a[160:161], a[40:41], v[112:115]// 000000003A78: D3F30070 1DC251A0
	v_mfma_f32_16x16x32_fp8_fp8 v[112:115], a[162:163], a[42:43], v[112:115]// 000000003A80: D3F30070 1DC255A2
	buffer_load_dword v76, s[20:23], 0 offen lds               // 000000003A88: E0511000 8005004C
	s_add_u32 m0, 0x900, s48                                   // 000000003A90: 807C30FF 00000900
	v_mfma_f32_16x16x32_fp8_fp8 v[112:115], a[164:165], a[44:45], v[112:115]// 000000003A98: D3F30070 1DC259A4
	v_mfma_f32_16x16x32_fp8_fp8 v[112:115], a[166:167], a[46:47], v[112:115]// 000000003AA0: D3F30070 1DC25DA6
	buffer_load_dword v77, s[20:23], 0 offen lds               // 000000003AA8: E0511000 8005004D
	s_add_u32 m0, 0xa00, s48                                   // 000000003AB0: 807C30FF 00000A00
	v_mfma_f32_16x16x32_fp8_fp8 v[116:119], a[160:161], a[48:49], v[116:119]// 000000003AB8: D3F30074 1DD261A0
	v_mfma_f32_16x16x32_fp8_fp8 v[116:119], a[162:163], a[50:51], v[116:119]// 000000003AC0: D3F30074 1DD265A2
	buffer_load_dword v78, s[20:23], 0 offen lds               // 000000003AC8: E0511000 8005004E
	s_add_u32 m0, 0xb00, s48                                   // 000000003AD0: 807C30FF 00000B00
	v_mfma_f32_16x16x32_fp8_fp8 v[116:119], a[164:165], a[52:53], v[116:119]// 000000003AD8: D3F30074 1DD269A4
	v_mfma_f32_16x16x32_fp8_fp8 v[116:119], a[166:167], a[54:55], v[116:119]// 000000003AE0: D3F30074 1DD26DA6
	buffer_load_dword v79, s[20:23], 0 offen lds               // 000000003AE8: E0511000 8005004F
	s_add_u32 m0, 0xc00, s48                                   // 000000003AF0: 807C30FF 00000C00
	v_mfma_f32_16x16x32_fp8_fp8 v[120:123], a[160:161], a[56:57], v[120:123]// 000000003AF8: D3F30078 1DE271A0
	v_mfma_f32_16x16x32_fp8_fp8 v[120:123], a[162:163], a[58:59], v[120:123]// 000000003B00: D3F30078 1DE275A2
	buffer_load_dword v80, s[20:23], 0 offen lds               // 000000003B08: E0511000 80050050
	s_add_u32 m0, 0xd00, s48                                   // 000000003B10: 807C30FF 00000D00
	v_mfma_f32_16x16x32_fp8_fp8 v[120:123], a[164:165], a[60:61], v[120:123]// 000000003B18: D3F30078 1DE279A4
	v_mfma_f32_16x16x32_fp8_fp8 v[120:123], a[166:167], a[62:63], v[120:123]// 000000003B20: D3F30078 1DE27DA6
	buffer_load_dword v81, s[20:23], 0 offen lds               // 000000003B28: E0511000 80050051
	s_add_u32 m0, 0xe00, s48                                   // 000000003B30: 807C30FF 00000E00
	v_mfma_f32_16x16x32_fp8_fp8 v[124:127], a[160:161], a[64:65], v[124:127]// 000000003B38: D3F3007C 1DF281A0
	v_mfma_f32_16x16x32_fp8_fp8 v[124:127], a[162:163], a[66:67], v[124:127]// 000000003B40: D3F3007C 1DF285A2
	buffer_load_dword v82, s[20:23], 0 offen lds               // 000000003B48: E0511000 80050052
	s_add_u32 m0, 0xf00, s48                                   // 000000003B50: 807C30FF 00000F00
	v_mfma_f32_16x16x32_fp8_fp8 v[124:127], a[164:165], a[68:69], v[124:127]// 000000003B58: D3F3007C 1DF289A4
	v_mfma_f32_16x16x32_fp8_fp8 v[124:127], a[166:167], a[70:71], v[124:127]// 000000003B60: D3F3007C 1DF28DA6
	buffer_load_dword v83, s[20:23], 0 offen lds               // 000000003B68: E0511000 80050053
	s_add_u32 m0, 0x1000, s48                                  // 000000003B70: 807C30FF 00001000
	v_mfma_f32_16x16x32_fp8_fp8 v[128:131], a[160:161], a[72:73], v[128:131]// 000000003B78: D3F30080 1E0291A0
	v_mfma_f32_16x16x32_fp8_fp8 v[128:131], a[162:163], a[74:75], v[128:131]// 000000003B80: D3F30080 1E0295A2
	buffer_load_dword v84, s[20:23], 0 offen lds               // 000000003B88: E0511000 80050054
	s_add_u32 m0, 0x1100, s48                                  // 000000003B90: 807C30FF 00001100
	s_add_u32 s60, 0x80, s80                                   // 000000003B98: 803C50FF 00000080
	s_cmp_lt_u32 s60, s81                                      // 000000003BA0: BF0A513C
	s_cselect_b32 s83, s83, 0                                  // 000000003BA4: 85538053
	v_mfma_f32_16x16x32_fp8_fp8 v[128:131], a[164:165], a[76:77], v[128:131]// 000000003BA8: D3F30080 1E0299A4
	v_mfma_f32_16x16x32_fp8_fp8 v[128:131], a[166:167], a[78:79], v[128:131]// 000000003BB0: D3F30080 1E029DA6
	buffer_load_dword v85, s[20:23], 0 offen lds               // 000000003BB8: E0511000 80050055
	s_add_u32 m0, 0x1200, s48                                  // 000000003BC0: 807C30FF 00001200
	buffer_load_dword v86, s[20:23], 0 offen lds               // 000000003BC8: E0511000 80050056
	s_add_u32 m0, 0x1300, s48                                  // 000000003BD0: 807C30FF 00001300
	buffer_load_dword v87, s[20:23], 0 offen lds               // 000000003BD8: E0511000 80050057
	s_add_u32 m0, 0, s49                                       // 000000003BE0: 807C3180
	s_waitcnt vmcnt(20)                                        // 000000003BE4: BF8C4F74
	v_mfma_f32_16x16x32_fp8_fp8 v[132:135], a[168:169], a[0:1], v[132:135]// 000000003BE8: D3F30084 1E1201A8
	v_mfma_f32_16x16x32_fp8_fp8 v[132:135], a[170:171], a[2:3], v[132:135]// 000000003BF0: D3F30084 1E1205AA
	buffer_load_dwordx4 a[160:163], v88, s[24:27], 0 offen     // 000000003BF8: E05C1000 8086A058
	v_mfma_f32_16x16x32_fp8_fp8 v[132:135], a[172:173], a[4:5], v[132:135]// 000000003C00: D3F30084 1E1209AC
	v_mfma_f32_16x16x32_fp8_fp8 v[132:135], a[174:175], a[6:7], v[132:135]// 000000003C08: D3F30084 1E120DAE
	ds_read_b128 a[80:83], v2 offset:20608                     // 000000003C10: DBFE5080 50000002
	ds_read_b128 a[84:87], v2 offset:20672                     // 000000003C18: DBFE50C0 54000002
	v_mfma_f32_16x16x32_fp8_fp8 v[136:139], a[168:169], a[8:9], v[136:139]// 000000003C20: D3F30088 1E2211A8
	v_mfma_f32_16x16x32_fp8_fp8 v[136:139], a[170:171], a[10:11], v[136:139]// 000000003C28: D3F30088 1E2215AA
	buffer_load_dwordx4 a[164:167], v88, s[24:27], 0 offen offset:1024// 000000003C30: E05C1400 8086A458
	v_mfma_f32_16x16x32_fp8_fp8 v[136:139], a[172:173], a[12:13], v[136:139]// 000000003C38: D3F30088 1E2219AC
	v_mfma_f32_16x16x32_fp8_fp8 v[136:139], a[174:175], a[14:15], v[136:139]// 000000003C40: D3F30088 1E221DAE
	ds_read_b128 a[88:91], v2 offset:21120                     // 000000003C48: DBFE5280 58000002
	ds_read_b128 a[92:95], v2 offset:21184                     // 000000003C50: DBFE52C0 5C000002
	v_mfma_f32_16x16x32_fp8_fp8 v[140:143], a[168:169], a[16:17], v[140:143]// 000000003C58: D3F3008C 1E3221A8
	v_mfma_f32_16x16x32_fp8_fp8 v[140:143], a[170:171], a[18:19], v[140:143]// 000000003C60: D3F3008C 1E3225AA
	v_mfma_f32_16x16x32_fp8_fp8 v[140:143], a[172:173], a[20:21], v[140:143]// 000000003C68: D3F3008C 1E3229AC
	v_mfma_f32_16x16x32_fp8_fp8 v[140:143], a[174:175], a[22:23], v[140:143]// 000000003C70: D3F3008C 1E322DAE
	ds_read_b128 a[96:99], v2 offset:21632                     // 000000003C78: DBFE5480 60000002
	ds_read_b128 a[100:103], v2 offset:21696                   // 000000003C80: DBFE54C0 64000002
	v_mfma_f32_16x16x32_fp8_fp8 v[144:147], a[168:169], a[24:25], v[144:147]// 000000003C88: D3F30090 1E4231A8
	v_mfma_f32_16x16x32_fp8_fp8 v[144:147], a[170:171], a[26:27], v[144:147]// 000000003C90: D3F30090 1E4235AA
	v_mfma_f32_16x16x32_fp8_fp8 v[144:147], a[172:173], a[28:29], v[144:147]// 000000003C98: D3F30090 1E4239AC
	v_mfma_f32_16x16x32_fp8_fp8 v[144:147], a[174:175], a[30:31], v[144:147]// 000000003CA0: D3F30090 1E423DAE
	ds_read_b128 a[104:107], v2 offset:22144                   // 000000003CA8: DBFE5680 68000002
	ds_read_b128 a[108:111], v2 offset:22208                   // 000000003CB0: DBFE56C0 6C000002
	v_mfma_f32_16x16x32_fp8_fp8 v[148:151], a[168:169], a[32:33], v[148:151]// 000000003CB8: D3F30094 1E5241A8
	v_mfma_f32_16x16x32_fp8_fp8 v[148:151], a[170:171], a[34:35], v[148:151]// 000000003CC0: D3F30094 1E5245AA
	v_mfma_f32_16x16x32_fp8_fp8 v[148:151], a[172:173], a[36:37], v[148:151]// 000000003CC8: D3F30094 1E5249AC
	v_mfma_f32_16x16x32_fp8_fp8 v[148:151], a[174:175], a[38:39], v[148:151]// 000000003CD0: D3F30094 1E524DAE
	ds_read_b128 a[112:115], v2 offset:22656                   // 000000003CD8: DBFE5880 70000002
	ds_read_b128 a[116:119], v2 offset:22720                   // 000000003CE0: DBFE58C0 74000002
	v_mfma_f32_16x16x32_fp8_fp8 v[152:155], a[168:169], a[40:41], v[152:155]// 000000003CE8: D3F30098 1E6251A8
	v_mfma_f32_16x16x32_fp8_fp8 v[152:155], a[170:171], a[42:43], v[152:155]// 000000003CF0: D3F30098 1E6255AA
	v_mfma_f32_16x16x32_fp8_fp8 v[152:155], a[172:173], a[44:45], v[152:155]// 000000003CF8: D3F30098 1E6259AC
	v_mfma_f32_16x16x32_fp8_fp8 v[152:155], a[174:175], a[46:47], v[152:155]// 000000003D00: D3F30098 1E625DAE
	ds_read_b128 a[120:123], v2 offset:23168                   // 000000003D08: DBFE5A80 78000002
	ds_read_b128 a[124:127], v2 offset:23232                   // 000000003D10: DBFE5AC0 7C000002
	v_mfma_f32_16x16x32_fp8_fp8 v[156:159], a[168:169], a[48:49], v[156:159]// 000000003D18: D3F3009C 1E7261A8
	v_mfma_f32_16x16x32_fp8_fp8 v[156:159], a[170:171], a[50:51], v[156:159]// 000000003D20: D3F3009C 1E7265AA
	v_mfma_f32_16x16x32_fp8_fp8 v[156:159], a[172:173], a[52:53], v[156:159]// 000000003D28: D3F3009C 1E7269AC
	v_mfma_f32_16x16x32_fp8_fp8 v[156:159], a[174:175], a[54:55], v[156:159]// 000000003D30: D3F3009C 1E726DAE
	ds_read_b128 a[128:131], v2 offset:23680                   // 000000003D38: DBFE5C80 80000002
	ds_read_b128 a[132:135], v2 offset:23744                   // 000000003D40: DBFE5CC0 84000002
	v_mfma_f32_16x16x32_fp8_fp8 v[160:163], a[168:169], a[56:57], v[160:163]// 000000003D48: D3F300A0 1E8271A8
	v_mfma_f32_16x16x32_fp8_fp8 v[160:163], a[170:171], a[58:59], v[160:163]// 000000003D50: D3F300A0 1E8275AA
	v_mfma_f32_16x16x32_fp8_fp8 v[160:163], a[172:173], a[60:61], v[160:163]// 000000003D58: D3F300A0 1E8279AC
	v_mfma_f32_16x16x32_fp8_fp8 v[160:163], a[174:175], a[62:63], v[160:163]// 000000003D60: D3F300A0 1E827DAE
	ds_read_b128 a[136:139], v2 offset:24192                   // 000000003D68: DBFE5E80 88000002
	ds_read_b128 a[140:143], v2 offset:24256                   // 000000003D70: DBFE5EC0 8C000002
	v_mfma_f32_16x16x32_fp8_fp8 v[164:167], a[168:169], a[64:65], v[164:167]// 000000003D78: D3F300A4 1E9281A8
	v_mfma_f32_16x16x32_fp8_fp8 v[164:167], a[170:171], a[66:67], v[164:167]// 000000003D80: D3F300A4 1E9285AA
	v_mfma_f32_16x16x32_fp8_fp8 v[164:167], a[172:173], a[68:69], v[164:167]// 000000003D88: D3F300A4 1E9289AC
	s_add_u32 s60, 0x180, s80                                  // 000000003D90: 803C50FF 00000180
	s_cmp_lt_u32 s60, s81                                      // 000000003D98: BF0A513C
	s_cselect_b32 s57, s57, 0                                  // 000000003D9C: 85398039
	v_mfma_f32_16x16x32_fp8_fp8 v[164:167], a[174:175], a[70:71], v[164:167]// 000000003DA0: D3F300A4 1E928DAE
	ds_read_b128 a[144:147], v2 offset:24704                   // 000000003DA8: DBFE6080 90000002
	ds_read_b128 a[148:151], v2 offset:24768                   // 000000003DB0: DBFE60C0 94000002
	s_add_u32 s60, 0x100, s80                                  // 000000003DB8: 803C50FF 00000100
	s_cmp_lt_u32 s60, s81                                      // 000000003DC0: BF0A513C
	s_cselect_b32 s58, s58, 0                                  // 000000003DC4: 853A803A
	v_mfma_f32_16x16x32_fp8_fp8 v[168:171], a[168:169], a[72:73], v[168:171]// 000000003DC8: D3F300A8 1EA291A8
	s_add_u32 s24, s58, s24                                    // 000000003DD0: 8018183A
	s_addc_u32 s25, 0, s25                                     // 000000003DD4: 82191980
	v_mfma_f32_16x16x32_fp8_fp8 v[168:171], a[170:171], a[74:75], v[168:171]// 000000003DD8: D3F300A8 1EA295AA
	s_add_u32 s20, s57, s20                                    // 000000003DE0: 80141439
	s_addc_u32 s21, 0, s21                                     // 000000003DE4: 82151580
	v_mfma_f32_16x16x32_fp8_fp8 v[168:171], a[172:173], a[76:77], v[168:171]// 000000003DE8: D3F300A8 1EA299AC
	s_add_u32 s84, s83, s84                                    // 000000003DF0: 80545453
	s_addc_u32 s85, 0, s85                                     // 000000003DF4: 82555580
	v_mfma_f32_16x16x32_fp8_fp8 v[168:171], a[174:175], a[78:79], v[168:171]// 000000003DF8: D3F300A8 1EA29DAE
	ds_read_b128 a[152:155], v2 offset:25216                   // 000000003E00: DBFE6280 98000002
	ds_read_b128 a[156:159], v2 offset:25280                   // 000000003E08: DBFE62C0 9C000002
	s_addk_i32 s80, 0x80                                       // 000000003E10: B7500080
	s_cmp_lt_i32 s80, s81                                      // 000000003E14: BF045150
	s_cbranch_scc0 label_063F                                  // 000000003E18: BF840138
	s_waitcnt vmcnt(0) lgkmcnt(0)                              // 000000003E1C: BF8C0070
	s_barrier                                                  // 000000003E20: BF8A0000
	v_mfma_f32_16x16x32_fp8_fp8 v[92:95], a[160:161], a[80:81], v[92:95]// 000000003E24: D3F3005C 1D72A1A0
	v_mfma_f32_16x16x32_fp8_fp8 v[92:95], a[162:163], a[82:83], v[92:95]// 000000003E2C: D3F3005C 1D72A5A2
	buffer_load_dwordx4 a[168:171], v88, s[84:87], 0 offen     // 000000003E34: E05C1000 8095A858
	v_mfma_f32_16x16x32_fp8_fp8 v[92:95], a[164:165], a[84:85], v[92:95]// 000000003E3C: D3F3005C 1D72A9A4
	v_mfma_f32_16x16x32_fp8_fp8 v[92:95], a[166:167], a[86:87], v[92:95]// 000000003E44: D3F3005C 1D72ADA6
	v_mfma_f32_16x16x32_fp8_fp8 v[96:99], a[160:161], a[88:89], v[96:99]// 000000003E4C: D3F30060 1D82B1A0
	v_mfma_f32_16x16x32_fp8_fp8 v[96:99], a[162:163], a[90:91], v[96:99]// 000000003E54: D3F30060 1D82B5A2
	buffer_load_dwordx4 a[172:175], v88, s[84:87], 0 offen offset:1024// 000000003E5C: E05C1400 8095AC58
	buffer_load_dword v68, s[20:23], 0 offen lds               // 000000003E64: E0511000 80050044
	s_add_u32 m0, 0x100, s49                                   // 000000003E6C: 807C31FF 00000100
	v_mfma_f32_16x16x32_fp8_fp8 v[96:99], a[164:165], a[92:93], v[96:99]// 000000003E74: D3F30060 1D82B9A4
	v_mfma_f32_16x16x32_fp8_fp8 v[96:99], a[166:167], a[94:95], v[96:99]// 000000003E7C: D3F30060 1D82BDA6
	buffer_load_dword v69, s[20:23], 0 offen lds               // 000000003E84: E0511000 80050045
	s_add_u32 m0, 0x200, s49                                   // 000000003E8C: 807C31FF 00000200
	v_mfma_f32_16x16x32_fp8_fp8 v[100:103], a[160:161], a[96:97], v[100:103]// 000000003E94: D3F30064 1D92C1A0
	v_mfma_f32_16x16x32_fp8_fp8 v[100:103], a[162:163], a[98:99], v[100:103]// 000000003E9C: D3F30064 1D92C5A2
	buffer_load_dword v70, s[20:23], 0 offen lds               // 000000003EA4: E0511000 80050046
	s_add_u32 m0, 0x300, s49                                   // 000000003EAC: 807C31FF 00000300
	v_mfma_f32_16x16x32_fp8_fp8 v[100:103], a[164:165], a[100:101], v[100:103]// 000000003EB4: D3F30064 1D92C9A4
	v_mfma_f32_16x16x32_fp8_fp8 v[100:103], a[166:167], a[102:103], v[100:103]// 000000003EBC: D3F30064 1D92CDA6
	buffer_load_dword v71, s[20:23], 0 offen lds               // 000000003EC4: E0511000 80050047
	s_add_u32 m0, 0x400, s49                                   // 000000003ECC: 807C31FF 00000400
	v_mfma_f32_16x16x32_fp8_fp8 v[104:107], a[160:161], a[104:105], v[104:107]// 000000003ED4: D3F30068 1DA2D1A0
	v_mfma_f32_16x16x32_fp8_fp8 v[104:107], a[162:163], a[106:107], v[104:107]// 000000003EDC: D3F30068 1DA2D5A2
	buffer_load_dword v72, s[20:23], 0 offen lds               // 000000003EE4: E0511000 80050048
	s_add_u32 m0, 0x500, s49                                   // 000000003EEC: 807C31FF 00000500
	v_mfma_f32_16x16x32_fp8_fp8 v[104:107], a[164:165], a[108:109], v[104:107]// 000000003EF4: D3F30068 1DA2D9A4
	v_mfma_f32_16x16x32_fp8_fp8 v[104:107], a[166:167], a[110:111], v[104:107]// 000000003EFC: D3F30068 1DA2DDA6
	buffer_load_dword v73, s[20:23], 0 offen lds               // 000000003F04: E0511000 80050049
	s_add_u32 m0, 0x600, s49                                   // 000000003F0C: 807C31FF 00000600
	v_mfma_f32_16x16x32_fp8_fp8 v[108:111], a[160:161], a[112:113], v[108:111]// 000000003F14: D3F3006C 1DB2E1A0
	v_mfma_f32_16x16x32_fp8_fp8 v[108:111], a[162:163], a[114:115], v[108:111]// 000000003F1C: D3F3006C 1DB2E5A2
	buffer_load_dword v74, s[20:23], 0 offen lds               // 000000003F24: E0511000 8005004A
	s_add_u32 m0, 0x700, s49                                   // 000000003F2C: 807C31FF 00000700
	v_mfma_f32_16x16x32_fp8_fp8 v[108:111], a[164:165], a[116:117], v[108:111]// 000000003F34: D3F3006C 1DB2E9A4
	v_mfma_f32_16x16x32_fp8_fp8 v[108:111], a[166:167], a[118:119], v[108:111]// 000000003F3C: D3F3006C 1DB2EDA6
	buffer_load_dword v75, s[20:23], 0 offen lds               // 000000003F44: E0511000 8005004B
	s_add_u32 m0, 0x800, s49                                   // 000000003F4C: 807C31FF 00000800
	v_mfma_f32_16x16x32_fp8_fp8 v[112:115], a[160:161], a[120:121], v[112:115]// 000000003F54: D3F30070 1DC2F1A0
	v_mfma_f32_16x16x32_fp8_fp8 v[112:115], a[162:163], a[122:123], v[112:115]// 000000003F5C: D3F30070 1DC2F5A2
	buffer_load_dword v76, s[20:23], 0 offen lds               // 000000003F64: E0511000 8005004C
	s_add_u32 m0, 0x900, s49                                   // 000000003F6C: 807C31FF 00000900
	v_mfma_f32_16x16x32_fp8_fp8 v[112:115], a[164:165], a[124:125], v[112:115]// 000000003F74: D3F30070 1DC2F9A4
	v_mfma_f32_16x16x32_fp8_fp8 v[112:115], a[166:167], a[126:127], v[112:115]// 000000003F7C: D3F30070 1DC2FDA6
	buffer_load_dword v77, s[20:23], 0 offen lds               // 000000003F84: E0511000 8005004D
	s_add_u32 m0, 0xa00, s49                                   // 000000003F8C: 807C31FF 00000A00
	v_mfma_f32_16x16x32_fp8_fp8 v[116:119], a[160:161], a[128:129], v[116:119]// 000000003F94: D3F30074 1DD301A0
	v_mfma_f32_16x16x32_fp8_fp8 v[116:119], a[162:163], a[130:131], v[116:119]// 000000003F9C: D3F30074 1DD305A2
	buffer_load_dword v78, s[20:23], 0 offen lds               // 000000003FA4: E0511000 8005004E
	s_add_u32 m0, 0xb00, s49                                   // 000000003FAC: 807C31FF 00000B00
	v_mfma_f32_16x16x32_fp8_fp8 v[116:119], a[164:165], a[132:133], v[116:119]// 000000003FB4: D3F30074 1DD309A4
	v_mfma_f32_16x16x32_fp8_fp8 v[116:119], a[166:167], a[134:135], v[116:119]// 000000003FBC: D3F30074 1DD30DA6
	buffer_load_dword v79, s[20:23], 0 offen lds               // 000000003FC4: E0511000 8005004F
	s_add_u32 m0, 0xc00, s49                                   // 000000003FCC: 807C31FF 00000C00
	v_mfma_f32_16x16x32_fp8_fp8 v[120:123], a[160:161], a[136:137], v[120:123]// 000000003FD4: D3F30078 1DE311A0
	v_mfma_f32_16x16x32_fp8_fp8 v[120:123], a[162:163], a[138:139], v[120:123]// 000000003FDC: D3F30078 1DE315A2
	buffer_load_dword v80, s[20:23], 0 offen lds               // 000000003FE4: E0511000 80050050
	s_add_u32 m0, 0xd00, s49                                   // 000000003FEC: 807C31FF 00000D00
	v_mfma_f32_16x16x32_fp8_fp8 v[120:123], a[164:165], a[140:141], v[120:123]// 000000003FF4: D3F30078 1DE319A4
	v_mfma_f32_16x16x32_fp8_fp8 v[120:123], a[166:167], a[142:143], v[120:123]// 000000003FFC: D3F30078 1DE31DA6
	buffer_load_dword v81, s[20:23], 0 offen lds               // 000000004004: E0511000 80050051
	s_add_u32 m0, 0xe00, s49                                   // 00000000400C: 807C31FF 00000E00
	v_mfma_f32_16x16x32_fp8_fp8 v[124:127], a[160:161], a[144:145], v[124:127]// 000000004014: D3F3007C 1DF321A0
	v_mfma_f32_16x16x32_fp8_fp8 v[124:127], a[162:163], a[146:147], v[124:127]// 00000000401C: D3F3007C 1DF325A2
	buffer_load_dword v82, s[20:23], 0 offen lds               // 000000004024: E0511000 80050052
	s_add_u32 m0, 0xf00, s49                                   // 00000000402C: 807C31FF 00000F00
	v_mfma_f32_16x16x32_fp8_fp8 v[124:127], a[164:165], a[148:149], v[124:127]// 000000004034: D3F3007C 1DF329A4
	v_mfma_f32_16x16x32_fp8_fp8 v[124:127], a[166:167], a[150:151], v[124:127]// 00000000403C: D3F3007C 1DF32DA6
	buffer_load_dword v83, s[20:23], 0 offen lds               // 000000004044: E0511000 80050053
	s_add_u32 m0, 0x1000, s49                                  // 00000000404C: 807C31FF 00001000
	v_mfma_f32_16x16x32_fp8_fp8 v[128:131], a[160:161], a[152:153], v[128:131]// 000000004054: D3F30080 1E0331A0
	v_mfma_f32_16x16x32_fp8_fp8 v[128:131], a[162:163], a[154:155], v[128:131]// 00000000405C: D3F30080 1E0335A2
	buffer_load_dword v84, s[20:23], 0 offen lds               // 000000004064: E0511000 80050054
	s_add_u32 m0, 0x1100, s49                                  // 00000000406C: 807C31FF 00001100
	s_add_u32 s60, 0x80, s80                                   // 000000004074: 803C50FF 00000080
	s_cmp_lt_u32 s60, s81                                      // 00000000407C: BF0A513C
	s_cselect_b32 s83, s83, 0                                  // 000000004080: 85538053
	v_mfma_f32_16x16x32_fp8_fp8 v[128:131], a[164:165], a[156:157], v[128:131]// 000000004084: D3F30080 1E0339A4
	v_mfma_f32_16x16x32_fp8_fp8 v[128:131], a[166:167], a[158:159], v[128:131]// 00000000408C: D3F30080 1E033DA6
	buffer_load_dword v85, s[20:23], 0 offen lds               // 000000004094: E0511000 80050055
	s_add_u32 m0, 0x1200, s49                                  // 00000000409C: 807C31FF 00001200
	buffer_load_dword v86, s[20:23], 0 offen lds               // 0000000040A4: E0511000 80050056
	s_add_u32 m0, 0x1300, s49                                  // 0000000040AC: 807C31FF 00001300
	buffer_load_dword v87, s[20:23], 0 offen lds               // 0000000040B4: E0511000 80050057
	s_add_u32 m0, 0, s48                                       // 0000000040BC: 807C3080
	s_waitcnt vmcnt(20)                                        // 0000000040C0: BF8C4F74
	v_mfma_f32_16x16x32_fp8_fp8 v[132:135], a[168:169], a[80:81], v[132:135]// 0000000040C4: D3F30084 1E12A1A8
	v_mfma_f32_16x16x32_fp8_fp8 v[132:135], a[170:171], a[82:83], v[132:135]// 0000000040CC: D3F30084 1E12A5AA
	buffer_load_dwordx4 a[160:163], v88, s[24:27], 0 offen     // 0000000040D4: E05C1000 8086A058
	v_mfma_f32_16x16x32_fp8_fp8 v[132:135], a[172:173], a[84:85], v[132:135]// 0000000040DC: D3F30084 1E12A9AC
	v_mfma_f32_16x16x32_fp8_fp8 v[132:135], a[174:175], a[86:87], v[132:135]// 0000000040E4: D3F30084 1E12ADAE
	ds_read_b128 a[0:3], v2                                    // 0000000040EC: DBFE0000 00000002
	ds_read_b128 a[4:7], v2 offset:64                          // 0000000040F4: DBFE0040 04000002
	v_mfma_f32_16x16x32_fp8_fp8 v[136:139], a[168:169], a[88:89], v[136:139]// 0000000040FC: D3F30088 1E22B1A8
	v_mfma_f32_16x16x32_fp8_fp8 v[136:139], a[170:171], a[90:91], v[136:139]// 000000004104: D3F30088 1E22B5AA
	buffer_load_dwordx4 a[164:167], v88, s[24:27], 0 offen offset:1024// 00000000410C: E05C1400 8086A458
	v_mfma_f32_16x16x32_fp8_fp8 v[136:139], a[172:173], a[92:93], v[136:139]// 000000004114: D3F30088 1E22B9AC
	v_mfma_f32_16x16x32_fp8_fp8 v[136:139], a[174:175], a[94:95], v[136:139]// 00000000411C: D3F30088 1E22BDAE
	ds_read_b128 a[8:11], v2 offset:512                        // 000000004124: DBFE0200 08000002
	ds_read_b128 a[12:15], v2 offset:576                       // 00000000412C: DBFE0240 0C000002
	v_mfma_f32_16x16x32_fp8_fp8 v[140:143], a[168:169], a[96:97], v[140:143]// 000000004134: D3F3008C 1E32C1A8
	v_mfma_f32_16x16x32_fp8_fp8 v[140:143], a[170:171], a[98:99], v[140:143]// 00000000413C: D3F3008C 1E32C5AA
	v_mfma_f32_16x16x32_fp8_fp8 v[140:143], a[172:173], a[100:101], v[140:143]// 000000004144: D3F3008C 1E32C9AC
	v_mfma_f32_16x16x32_fp8_fp8 v[140:143], a[174:175], a[102:103], v[140:143]// 00000000414C: D3F3008C 1E32CDAE
	ds_read_b128 a[16:19], v2 offset:1024                      // 000000004154: DBFE0400 10000002
	ds_read_b128 a[20:23], v2 offset:1088                      // 00000000415C: DBFE0440 14000002
	v_mfma_f32_16x16x32_fp8_fp8 v[144:147], a[168:169], a[104:105], v[144:147]// 000000004164: D3F30090 1E42D1A8
	v_mfma_f32_16x16x32_fp8_fp8 v[144:147], a[170:171], a[106:107], v[144:147]// 00000000416C: D3F30090 1E42D5AA
	v_mfma_f32_16x16x32_fp8_fp8 v[144:147], a[172:173], a[108:109], v[144:147]// 000000004174: D3F30090 1E42D9AC
	v_mfma_f32_16x16x32_fp8_fp8 v[144:147], a[174:175], a[110:111], v[144:147]// 00000000417C: D3F30090 1E42DDAE
	ds_read_b128 a[24:27], v2 offset:1536                      // 000000004184: DBFE0600 18000002
	ds_read_b128 a[28:31], v2 offset:1600                      // 00000000418C: DBFE0640 1C000002
	v_mfma_f32_16x16x32_fp8_fp8 v[148:151], a[168:169], a[112:113], v[148:151]// 000000004194: D3F30094 1E52E1A8
	v_mfma_f32_16x16x32_fp8_fp8 v[148:151], a[170:171], a[114:115], v[148:151]// 00000000419C: D3F30094 1E52E5AA
	v_mfma_f32_16x16x32_fp8_fp8 v[148:151], a[172:173], a[116:117], v[148:151]// 0000000041A4: D3F30094 1E52E9AC
	v_mfma_f32_16x16x32_fp8_fp8 v[148:151], a[174:175], a[118:119], v[148:151]// 0000000041AC: D3F30094 1E52EDAE
	ds_read_b128 a[32:35], v2 offset:2048                      // 0000000041B4: DBFE0800 20000002
	ds_read_b128 a[36:39], v2 offset:2112                      // 0000000041BC: DBFE0840 24000002
	v_mfma_f32_16x16x32_fp8_fp8 v[152:155], a[168:169], a[120:121], v[152:155]// 0000000041C4: D3F30098 1E62F1A8
	v_mfma_f32_16x16x32_fp8_fp8 v[152:155], a[170:171], a[122:123], v[152:155]// 0000000041CC: D3F30098 1E62F5AA
	v_mfma_f32_16x16x32_fp8_fp8 v[152:155], a[172:173], a[124:125], v[152:155]// 0000000041D4: D3F30098 1E62F9AC
	v_mfma_f32_16x16x32_fp8_fp8 v[152:155], a[174:175], a[126:127], v[152:155]// 0000000041DC: D3F30098 1E62FDAE
	ds_read_b128 a[40:43], v2 offset:2560                      // 0000000041E4: DBFE0A00 28000002
	ds_read_b128 a[44:47], v2 offset:2624                      // 0000000041EC: DBFE0A40 2C000002
	v_mfma_f32_16x16x32_fp8_fp8 v[156:159], a[168:169], a[128:129], v[156:159]// 0000000041F4: D3F3009C 1E7301A8
	v_mfma_f32_16x16x32_fp8_fp8 v[156:159], a[170:171], a[130:131], v[156:159]// 0000000041FC: D3F3009C 1E7305AA
	v_mfma_f32_16x16x32_fp8_fp8 v[156:159], a[172:173], a[132:133], v[156:159]// 000000004204: D3F3009C 1E7309AC
	v_mfma_f32_16x16x32_fp8_fp8 v[156:159], a[174:175], a[134:135], v[156:159]// 00000000420C: D3F3009C 1E730DAE
	ds_read_b128 a[48:51], v2 offset:3072                      // 000000004214: DBFE0C00 30000002
	ds_read_b128 a[52:55], v2 offset:3136                      // 00000000421C: DBFE0C40 34000002
	v_mfma_f32_16x16x32_fp8_fp8 v[160:163], a[168:169], a[136:137], v[160:163]// 000000004224: D3F300A0 1E8311A8
	v_mfma_f32_16x16x32_fp8_fp8 v[160:163], a[170:171], a[138:139], v[160:163]// 00000000422C: D3F300A0 1E8315AA
	v_mfma_f32_16x16x32_fp8_fp8 v[160:163], a[172:173], a[140:141], v[160:163]// 000000004234: D3F300A0 1E8319AC
	v_mfma_f32_16x16x32_fp8_fp8 v[160:163], a[174:175], a[142:143], v[160:163]// 00000000423C: D3F300A0 1E831DAE
	ds_read_b128 a[56:59], v2 offset:3584                      // 000000004244: DBFE0E00 38000002
	ds_read_b128 a[60:63], v2 offset:3648                      // 00000000424C: DBFE0E40 3C000002
	v_mfma_f32_16x16x32_fp8_fp8 v[164:167], a[168:169], a[144:145], v[164:167]// 000000004254: D3F300A4 1E9321A8
	v_mfma_f32_16x16x32_fp8_fp8 v[164:167], a[170:171], a[146:147], v[164:167]// 00000000425C: D3F300A4 1E9325AA
	v_mfma_f32_16x16x32_fp8_fp8 v[164:167], a[172:173], a[148:149], v[164:167]// 000000004264: D3F300A4 1E9329AC
	s_add_u32 s60, 0x180, s80                                  // 00000000426C: 803C50FF 00000180
	s_cmp_lt_u32 s60, s81                                      // 000000004274: BF0A513C
	s_cselect_b32 s57, s57, 0                                  // 000000004278: 85398039
	v_mfma_f32_16x16x32_fp8_fp8 v[164:167], a[174:175], a[150:151], v[164:167]// 00000000427C: D3F300A4 1E932DAE
	ds_read_b128 a[64:67], v2 offset:4096                      // 000000004284: DBFE1000 40000002
	ds_read_b128 a[68:71], v2 offset:4160                      // 00000000428C: DBFE1040 44000002
	s_add_u32 s60, 0x100, s80                                  // 000000004294: 803C50FF 00000100
	s_cmp_lt_u32 s60, s81                                      // 00000000429C: BF0A513C
	s_cselect_b32 s58, s58, 0                                  // 0000000042A0: 853A803A
	v_mfma_f32_16x16x32_fp8_fp8 v[168:171], a[168:169], a[152:153], v[168:171]// 0000000042A4: D3F300A8 1EA331A8
	s_add_u32 s24, s58, s24                                    // 0000000042AC: 8018183A
	s_addc_u32 s25, 0, s25                                     // 0000000042B0: 82191980
	v_mfma_f32_16x16x32_fp8_fp8 v[168:171], a[170:171], a[154:155], v[168:171]// 0000000042B4: D3F300A8 1EA335AA
	s_add_u32 s20, s57, s20                                    // 0000000042BC: 80141439
	s_addc_u32 s21, 0, s21                                     // 0000000042C0: 82151580
	v_mfma_f32_16x16x32_fp8_fp8 v[168:171], a[172:173], a[156:157], v[168:171]// 0000000042C4: D3F300A8 1EA339AC
	s_add_u32 s84, s83, s84                                    // 0000000042CC: 80545453
	s_addc_u32 s85, 0, s85                                     // 0000000042D0: 82555580
	v_mfma_f32_16x16x32_fp8_fp8 v[168:171], a[174:175], a[158:159], v[168:171]// 0000000042D4: D3F300A8 1EA33DAE
	ds_read_b128 a[72:75], v2 offset:4608                      // 0000000042DC: DBFE1200 48000002
	ds_read_b128 a[76:79], v2 offset:4672                      // 0000000042E4: DBFE1240 4C000002
	s_addk_i32 s80, 0x80                                       // 0000000042EC: B7500080
	s_cmp_lt_i32 s80, s81                                      // 0000000042F0: BF045150
	s_cbranch_scc0 label_063F                                  // 0000000042F4: BF840001
	s_branch label_03D0                                        // 0000000042F8: BF82FD91

00000000000042fc <label_063F>:
	v_mul_f32_dpp v92, v24, v92 row_newbcast:0 row_mask:0xf bank_mask:0xf// 0000000042FC: 0AB8B8FA FF015018
	v_mul_f32_dpp v93, v24, v93 row_newbcast:1 row_mask:0xf bank_mask:0xf// 000000004304: 0ABABAFA FF015118
	v_mul_f32_dpp v94, v24, v94 row_newbcast:2 row_mask:0xf bank_mask:0xf// 00000000430C: 0ABCBCFA FF015218
	v_mul_f32_dpp v95, v24, v95 row_newbcast:3 row_mask:0xf bank_mask:0xf// 000000004314: 0ABEBEFA FF015318
	v_mul_f32_dpp v96, v24, v96 row_newbcast:0 row_mask:0xf bank_mask:0xf// 00000000431C: 0AC0C0FA FF015018
	v_mul_f32_dpp v97, v24, v97 row_newbcast:1 row_mask:0xf bank_mask:0xf// 000000004324: 0AC2C2FA FF015118
	v_mul_f32_dpp v98, v24, v98 row_newbcast:2 row_mask:0xf bank_mask:0xf// 00000000432C: 0AC4C4FA FF015218
	v_mul_f32_dpp v99, v24, v99 row_newbcast:3 row_mask:0xf bank_mask:0xf// 000000004334: 0AC6C6FA FF015318
	v_mul_f32_dpp v100, v24, v100 row_newbcast:0 row_mask:0xf bank_mask:0xf// 00000000433C: 0AC8C8FA FF015018
	v_mul_f32_dpp v101, v24, v101 row_newbcast:1 row_mask:0xf bank_mask:0xf// 000000004344: 0ACACAFA FF015118
	v_mul_f32_dpp v102, v24, v102 row_newbcast:2 row_mask:0xf bank_mask:0xf// 00000000434C: 0ACCCCFA FF015218
	v_mul_f32_dpp v103, v24, v103 row_newbcast:3 row_mask:0xf bank_mask:0xf// 000000004354: 0ACECEFA FF015318
	v_mul_f32_dpp v104, v24, v104 row_newbcast:0 row_mask:0xf bank_mask:0xf// 00000000435C: 0AD0D0FA FF015018
	v_mul_f32_dpp v105, v24, v105 row_newbcast:1 row_mask:0xf bank_mask:0xf// 000000004364: 0AD2D2FA FF015118
	v_mul_f32_dpp v106, v24, v106 row_newbcast:2 row_mask:0xf bank_mask:0xf// 00000000436C: 0AD4D4FA FF015218
	v_mul_f32_dpp v107, v24, v107 row_newbcast:3 row_mask:0xf bank_mask:0xf// 000000004374: 0AD6D6FA FF015318
	v_mul_f32_dpp v108, v24, v108 row_newbcast:0 row_mask:0xf bank_mask:0xf// 00000000437C: 0AD8D8FA FF015018
	v_mul_f32_dpp v109, v24, v109 row_newbcast:1 row_mask:0xf bank_mask:0xf// 000000004384: 0ADADAFA FF015118
	v_mul_f32_dpp v110, v24, v110 row_newbcast:2 row_mask:0xf bank_mask:0xf// 00000000438C: 0ADCDCFA FF015218
	v_mul_f32_dpp v111, v24, v111 row_newbcast:3 row_mask:0xf bank_mask:0xf// 000000004394: 0ADEDEFA FF015318
	v_mul_f32_dpp v112, v24, v112 row_newbcast:0 row_mask:0xf bank_mask:0xf// 00000000439C: 0AE0E0FA FF015018
	v_mul_f32_dpp v113, v24, v113 row_newbcast:1 row_mask:0xf bank_mask:0xf// 0000000043A4: 0AE2E2FA FF015118
	v_mul_f32_dpp v114, v24, v114 row_newbcast:2 row_mask:0xf bank_mask:0xf// 0000000043AC: 0AE4E4FA FF015218
	v_mul_f32_dpp v115, v24, v115 row_newbcast:3 row_mask:0xf bank_mask:0xf// 0000000043B4: 0AE6E6FA FF015318
	v_mul_f32_dpp v116, v24, v116 row_newbcast:0 row_mask:0xf bank_mask:0xf// 0000000043BC: 0AE8E8FA FF015018
	v_mul_f32_dpp v117, v24, v117 row_newbcast:1 row_mask:0xf bank_mask:0xf// 0000000043C4: 0AEAEAFA FF015118
	v_mul_f32_dpp v118, v24, v118 row_newbcast:2 row_mask:0xf bank_mask:0xf// 0000000043CC: 0AECECFA FF015218
	v_mul_f32_dpp v119, v24, v119 row_newbcast:3 row_mask:0xf bank_mask:0xf// 0000000043D4: 0AEEEEFA FF015318
	v_mul_f32_dpp v120, v24, v120 row_newbcast:0 row_mask:0xf bank_mask:0xf// 0000000043DC: 0AF0F0FA FF015018
	v_mul_f32_dpp v121, v24, v121 row_newbcast:1 row_mask:0xf bank_mask:0xf// 0000000043E4: 0AF2F2FA FF015118
	v_mul_f32_dpp v122, v24, v122 row_newbcast:2 row_mask:0xf bank_mask:0xf// 0000000043EC: 0AF4F4FA FF015218
	v_mul_f32_dpp v123, v24, v123 row_newbcast:3 row_mask:0xf bank_mask:0xf// 0000000043F4: 0AF6F6FA FF015318
	v_mul_f32_dpp v124, v24, v124 row_newbcast:0 row_mask:0xf bank_mask:0xf// 0000000043FC: 0AF8F8FA FF015018
	v_mul_f32_dpp v125, v24, v125 row_newbcast:1 row_mask:0xf bank_mask:0xf// 000000004404: 0AFAFAFA FF015118
	v_mul_f32_dpp v126, v24, v126 row_newbcast:2 row_mask:0xf bank_mask:0xf// 00000000440C: 0AFCFCFA FF015218
	v_mul_f32_dpp v127, v24, v127 row_newbcast:3 row_mask:0xf bank_mask:0xf// 000000004414: 0AFEFEFA FF015318
	v_mul_f32_dpp v128, v24, v128 row_newbcast:0 row_mask:0xf bank_mask:0xf// 00000000441C: 0B0100FA FF015018
	v_mul_f32_dpp v129, v24, v129 row_newbcast:1 row_mask:0xf bank_mask:0xf// 000000004424: 0B0302FA FF015118
	v_mul_f32_dpp v130, v24, v130 row_newbcast:2 row_mask:0xf bank_mask:0xf// 00000000442C: 0B0504FA FF015218
	v_mul_f32_dpp v131, v24, v131 row_newbcast:3 row_mask:0xf bank_mask:0xf// 000000004434: 0B0706FA FF015318
	v_mul_f32_dpp v132, v26, v132 row_newbcast:0 row_mask:0xf bank_mask:0xf// 00000000443C: 0B0908FA FF01501A
	v_mul_f32_dpp v133, v26, v133 row_newbcast:1 row_mask:0xf bank_mask:0xf// 000000004444: 0B0B0AFA FF01511A
	v_mul_f32_dpp v134, v26, v134 row_newbcast:2 row_mask:0xf bank_mask:0xf// 00000000444C: 0B0D0CFA FF01521A
	v_mul_f32_dpp v135, v26, v135 row_newbcast:3 row_mask:0xf bank_mask:0xf// 000000004454: 0B0F0EFA FF01531A
	v_mul_f32_dpp v136, v26, v136 row_newbcast:0 row_mask:0xf bank_mask:0xf// 00000000445C: 0B1110FA FF01501A
	v_mul_f32_dpp v137, v26, v137 row_newbcast:1 row_mask:0xf bank_mask:0xf// 000000004464: 0B1312FA FF01511A
	v_mul_f32_dpp v138, v26, v138 row_newbcast:2 row_mask:0xf bank_mask:0xf// 00000000446C: 0B1514FA FF01521A
	v_mul_f32_dpp v139, v26, v139 row_newbcast:3 row_mask:0xf bank_mask:0xf// 000000004474: 0B1716FA FF01531A
	v_mul_f32_dpp v140, v26, v140 row_newbcast:0 row_mask:0xf bank_mask:0xf// 00000000447C: 0B1918FA FF01501A
	v_mul_f32_dpp v141, v26, v141 row_newbcast:1 row_mask:0xf bank_mask:0xf// 000000004484: 0B1B1AFA FF01511A
	v_mul_f32_dpp v142, v26, v142 row_newbcast:2 row_mask:0xf bank_mask:0xf// 00000000448C: 0B1D1CFA FF01521A
	v_mul_f32_dpp v143, v26, v143 row_newbcast:3 row_mask:0xf bank_mask:0xf// 000000004494: 0B1F1EFA FF01531A
	v_mul_f32_dpp v144, v26, v144 row_newbcast:0 row_mask:0xf bank_mask:0xf// 00000000449C: 0B2120FA FF01501A
	v_mul_f32_dpp v145, v26, v145 row_newbcast:1 row_mask:0xf bank_mask:0xf// 0000000044A4: 0B2322FA FF01511A
	v_mul_f32_dpp v146, v26, v146 row_newbcast:2 row_mask:0xf bank_mask:0xf// 0000000044AC: 0B2524FA FF01521A
	v_mul_f32_dpp v147, v26, v147 row_newbcast:3 row_mask:0xf bank_mask:0xf// 0000000044B4: 0B2726FA FF01531A
	v_mul_f32_dpp v148, v26, v148 row_newbcast:0 row_mask:0xf bank_mask:0xf// 0000000044BC: 0B2928FA FF01501A
	v_mul_f32_dpp v149, v26, v149 row_newbcast:1 row_mask:0xf bank_mask:0xf// 0000000044C4: 0B2B2AFA FF01511A
	v_mul_f32_dpp v150, v26, v150 row_newbcast:2 row_mask:0xf bank_mask:0xf// 0000000044CC: 0B2D2CFA FF01521A
	v_mul_f32_dpp v151, v26, v151 row_newbcast:3 row_mask:0xf bank_mask:0xf// 0000000044D4: 0B2F2EFA FF01531A
	v_mul_f32_dpp v152, v26, v152 row_newbcast:0 row_mask:0xf bank_mask:0xf// 0000000044DC: 0B3130FA FF01501A
	v_mul_f32_dpp v153, v26, v153 row_newbcast:1 row_mask:0xf bank_mask:0xf// 0000000044E4: 0B3332FA FF01511A
	v_mul_f32_dpp v154, v26, v154 row_newbcast:2 row_mask:0xf bank_mask:0xf// 0000000044EC: 0B3534FA FF01521A
	v_mul_f32_dpp v155, v26, v155 row_newbcast:3 row_mask:0xf bank_mask:0xf// 0000000044F4: 0B3736FA FF01531A
	v_mul_f32_dpp v156, v26, v156 row_newbcast:0 row_mask:0xf bank_mask:0xf// 0000000044FC: 0B3938FA FF01501A
	v_mul_f32_dpp v157, v26, v157 row_newbcast:1 row_mask:0xf bank_mask:0xf// 000000004504: 0B3B3AFA FF01511A
	v_mul_f32_dpp v158, v26, v158 row_newbcast:2 row_mask:0xf bank_mask:0xf// 00000000450C: 0B3D3CFA FF01521A
	v_mul_f32_dpp v159, v26, v159 row_newbcast:3 row_mask:0xf bank_mask:0xf// 000000004514: 0B3F3EFA FF01531A
	v_mul_f32_dpp v160, v26, v160 row_newbcast:0 row_mask:0xf bank_mask:0xf// 00000000451C: 0B4140FA FF01501A
	v_mul_f32_dpp v161, v26, v161 row_newbcast:1 row_mask:0xf bank_mask:0xf// 000000004524: 0B4342FA FF01511A
	v_mul_f32_dpp v162, v26, v162 row_newbcast:2 row_mask:0xf bank_mask:0xf// 00000000452C: 0B4544FA FF01521A
	v_mul_f32_dpp v163, v26, v163 row_newbcast:3 row_mask:0xf bank_mask:0xf// 000000004534: 0B4746FA FF01531A
	v_mul_f32_dpp v164, v26, v164 row_newbcast:0 row_mask:0xf bank_mask:0xf// 00000000453C: 0B4948FA FF01501A
	v_mul_f32_dpp v165, v26, v165 row_newbcast:1 row_mask:0xf bank_mask:0xf// 000000004544: 0B4B4AFA FF01511A
	v_mul_f32_dpp v166, v26, v166 row_newbcast:2 row_mask:0xf bank_mask:0xf// 00000000454C: 0B4D4CFA FF01521A
	v_mul_f32_dpp v167, v26, v167 row_newbcast:3 row_mask:0xf bank_mask:0xf// 000000004554: 0B4F4EFA FF01531A
	v_mul_f32_dpp v168, v26, v168 row_newbcast:0 row_mask:0xf bank_mask:0xf// 00000000455C: 0B5150FA FF01501A
	v_mul_f32_dpp v169, v26, v169 row_newbcast:1 row_mask:0xf bank_mask:0xf// 000000004564: 0B5352FA FF01511A
	v_mul_f32_dpp v170, v26, v170 row_newbcast:2 row_mask:0xf bank_mask:0xf// 00000000456C: 0B5554FA FF01521A
	v_mul_f32_dpp v171, v26, v171 row_newbcast:3 row_mask:0xf bank_mask:0xf// 000000004574: 0B5756FA FF01531A
	v_mov_b32_e32 v4, v38                                      // 00000000457C: 7E080326
	v_mov_b32_e32 v5, v4                                       // 000000004580: 7E0A0304
	v_pk_mul_f32 v[92:93], v[4:5], v[92:93]                    // 000000004584: D3B1405C 1802B904
	v_pk_mul_f32 v[132:133], v[4:5], v[132:133]                // 00000000458C: D3B14084 18030904
	v_pk_mul_f32 v[94:95], v[4:5], v[94:95]                    // 000000004594: D3B1405E 1802BD04
	v_pk_mul_f32 v[134:135], v[4:5], v[134:135]                // 00000000459C: D3B14086 18030D04
	v_mov_b32_e32 v4, v39                                      // 0000000045A4: 7E080327
	v_mov_b32_e32 v5, v4                                       // 0000000045A8: 7E0A0304
	v_pk_mul_f32 v[96:97], v[4:5], v[96:97]                    // 0000000045AC: D3B14060 1802C104
	v_pk_mul_f32 v[136:137], v[4:5], v[136:137]                // 0000000045B4: D3B14088 18031104
	v_pk_mul_f32 v[98:99], v[4:5], v[98:99]                    // 0000000045BC: D3B14062 1802C504
	v_pk_mul_f32 v[138:139], v[4:5], v[138:139]                // 0000000045C4: D3B1408A 18031504
	v_mov_b32_e32 v4, v40                                      // 0000000045CC: 7E080328
	v_mov_b32_e32 v5, v4                                       // 0000000045D0: 7E0A0304
	v_pk_mul_f32 v[100:101], v[4:5], v[100:101]                // 0000000045D4: D3B14064 1802C904
	v_pk_mul_f32 v[140:141], v[4:5], v[140:141]                // 0000000045DC: D3B1408C 18031904
	v_pk_mul_f32 v[102:103], v[4:5], v[102:103]                // 0000000045E4: D3B14066 1802CD04
	v_pk_mul_f32 v[142:143], v[4:5], v[142:143]                // 0000000045EC: D3B1408E 18031D04
	v_mov_b32_e32 v4, v41                                      // 0000000045F4: 7E080329
	v_mov_b32_e32 v5, v4                                       // 0000000045F8: 7E0A0304
	v_pk_mul_f32 v[104:105], v[4:5], v[104:105]                // 0000000045FC: D3B14068 1802D104
	v_pk_mul_f32 v[144:145], v[4:5], v[144:145]                // 000000004604: D3B14090 18032104
	v_pk_mul_f32 v[106:107], v[4:5], v[106:107]                // 00000000460C: D3B1406A 1802D504
	v_pk_mul_f32 v[146:147], v[4:5], v[146:147]                // 000000004614: D3B14092 18032504
	v_mov_b32_e32 v4, v42                                      // 00000000461C: 7E08032A
	v_mov_b32_e32 v5, v4                                       // 000000004620: 7E0A0304
	v_pk_mul_f32 v[108:109], v[4:5], v[108:109]                // 000000004624: D3B1406C 1802D904
	v_pk_mul_f32 v[148:149], v[4:5], v[148:149]                // 00000000462C: D3B14094 18032904
	v_pk_mul_f32 v[110:111], v[4:5], v[110:111]                // 000000004634: D3B1406E 1802DD04
	v_pk_mul_f32 v[150:151], v[4:5], v[150:151]                // 00000000463C: D3B14096 18032D04
	v_mov_b32_e32 v4, v43                                      // 000000004644: 7E08032B
	v_mov_b32_e32 v5, v4                                       // 000000004648: 7E0A0304
	v_pk_mul_f32 v[112:113], v[4:5], v[112:113]                // 00000000464C: D3B14070 1802E104
	v_pk_mul_f32 v[152:153], v[4:5], v[152:153]                // 000000004654: D3B14098 18033104
	v_pk_mul_f32 v[114:115], v[4:5], v[114:115]                // 00000000465C: D3B14072 1802E504
	v_pk_mul_f32 v[154:155], v[4:5], v[154:155]                // 000000004664: D3B1409A 18033504
	v_mov_b32_e32 v4, v44                                      // 00000000466C: 7E08032C
	v_mov_b32_e32 v5, v4                                       // 000000004670: 7E0A0304
	v_pk_mul_f32 v[116:117], v[4:5], v[116:117]                // 000000004674: D3B14074 1802E904
	v_pk_mul_f32 v[156:157], v[4:5], v[156:157]                // 00000000467C: D3B1409C 18033904
	v_pk_mul_f32 v[118:119], v[4:5], v[118:119]                // 000000004684: D3B14076 1802ED04
	v_pk_mul_f32 v[158:159], v[4:5], v[158:159]                // 00000000468C: D3B1409E 18033D04
	v_mov_b32_e32 v4, v45                                      // 000000004694: 7E08032D
	v_mov_b32_e32 v5, v4                                       // 000000004698: 7E0A0304
	v_pk_mul_f32 v[120:121], v[4:5], v[120:121]                // 00000000469C: D3B14078 1802F104
	v_pk_mul_f32 v[160:161], v[4:5], v[160:161]                // 0000000046A4: D3B140A0 18034104
	v_pk_mul_f32 v[122:123], v[4:5], v[122:123]                // 0000000046AC: D3B1407A 1802F504
	v_pk_mul_f32 v[162:163], v[4:5], v[162:163]                // 0000000046B4: D3B140A2 18034504
	v_mov_b32_e32 v4, v46                                      // 0000000046BC: 7E08032E
	v_mov_b32_e32 v5, v4                                       // 0000000046C0: 7E0A0304
	v_pk_mul_f32 v[124:125], v[4:5], v[124:125]                // 0000000046C4: D3B1407C 1802F904
	v_pk_mul_f32 v[164:165], v[4:5], v[164:165]                // 0000000046CC: D3B140A4 18034904
	v_pk_mul_f32 v[126:127], v[4:5], v[126:127]                // 0000000046D4: D3B1407E 1802FD04
	v_pk_mul_f32 v[166:167], v[4:5], v[166:167]                // 0000000046DC: D3B140A6 18034D04
	v_mov_b32_e32 v4, v47                                      // 0000000046E4: 7E08032F
	v_mov_b32_e32 v5, v4                                       // 0000000046E8: 7E0A0304
	v_pk_mul_f32 v[128:129], v[4:5], v[128:129]                // 0000000046EC: D3B14080 18030104
	v_pk_mul_f32 v[168:169], v[4:5], v[168:169]                // 0000000046F4: D3B140A8 18035104
	v_pk_mul_f32 v[130:131], v[4:5], v[130:131]                // 0000000046FC: D3B14082 18030504
	v_pk_mul_f32 v[170:171], v[4:5], v[170:171]                // 000000004704: D3B140AA 18035504
	s_cmp_eq_u32 s88, 0                                        // 00000000470C: BF068058
	s_cbranch_scc0 label_0EAA                                  // 000000004710: BF840765
	s_cmp_eq_u32 s89, 0                                        // 000000004714: BF068059
	s_cbranch_scc1 label_08DC                                  // 000000004718: BF850195
	v_mov_b32_e32 v8, v1                                       // 00000000471C: 7E100301
	v_mov_b32_e32 v9, v1                                       // 000000004720: 7E120301
	s_mov_b32 s60, s6                                          // 000000004724: BEBC0006
	s_mov_b32 s61, s6                                          // 000000004728: BEBD0006
	v_pk_mul_f32 v[4:5], v[92:93], v[92:93]                    // 00000000472C: D3B14004 1802B95C
	v_pk_mul_f32 v[6:7], v[94:95], v[94:95]                    // 000000004734: D3B14006 1802BD5E
	v_pk_fma_f32 v[4:5], v[4:5], s[78:79], v[8:9]              // 00000000473C: D3B04004 1C209D04
	v_pk_fma_f32 v[6:7], v[6:7], s[78:79], v[8:9]              // 000000004744: D3B04006 1C209D06
	v_pk_mul_f32 v[4:5], v[4:5], v[92:93]                      // 00000000474C: D3B14004 1802B904
	v_pk_mul_f32 v[6:7], v[6:7], v[94:95]                      // 000000004754: D3B14006 1802BD06
	v_pk_mul_f32 v[4:5], v[4:5], s[60:61]                      // 00000000475C: D3B14004 18007904
	v_pk_mul_f32 v[6:7], v[6:7], s[60:61]                      // 000000004764: D3B14006 18007906
	v_exp_f32_e32 v4, v4                                       // 00000000476C: 7E084104
	v_exp_f32_e32 v5, v5                                       // 000000004770: 7E0A4105
	v_exp_f32_e32 v6, v6                                       // 000000004774: 7E0C4106
	v_exp_f32_e32 v7, v7                                       // 000000004778: 7E0E4107
	v_add_f32_e64 v4, v4, 1.0                                  // 00000000477C: D1010004 0001E504
	v_add_f32_e64 v5, v5, 1.0                                  // 000000004784: D1010005 0001E505
	v_add_f32_e64 v6, v6, 1.0                                  // 00000000478C: D1010006 0001E506
	v_add_f32_e64 v7, v7, 1.0                                  // 000000004794: D1010007 0001E507
	v_rcp_f32_e32 v4, v4                                       // 00000000479C: 7E084504
	v_rcp_f32_e32 v5, v5                                       // 0000000047A0: 7E0A4505
	v_rcp_f32_e32 v6, v6                                       // 0000000047A4: 7E0C4506
	v_rcp_f32_e32 v7, v7                                       // 0000000047A8: 7E0E4507
	v_mul_f32_e32 v92, v92, v4                                 // 0000000047AC: 0AB8095C
	v_mul_f32_e32 v93, v93, v5                                 // 0000000047B0: 0ABA0B5D
	v_mul_f32_e32 v94, v94, v6                                 // 0000000047B4: 0ABC0D5E
	v_mul_f32_e32 v95, v95, v7                                 // 0000000047B8: 0ABE0F5F
	v_mul_f32_e32 v92, v92, v132                               // 0000000047BC: 0AB9095C
	v_mul_f32_e32 v93, v93, v133                               // 0000000047C0: 0ABB0B5D
	v_mul_f32_e32 v94, v94, v134                               // 0000000047C4: 0ABD0D5E
	v_mul_f32_e32 v95, v95, v135                               // 0000000047C8: 0ABF0F5F
	v_pk_mul_f32 v[4:5], v[96:97], v[96:97]                    // 0000000047CC: D3B14004 1802C160
	v_pk_mul_f32 v[6:7], v[98:99], v[98:99]                    // 0000000047D4: D3B14006 1802C562
	v_pk_fma_f32 v[4:5], v[4:5], s[78:79], v[8:9]              // 0000000047DC: D3B04004 1C209D04
	v_pk_fma_f32 v[6:7], v[6:7], s[78:79], v[8:9]              // 0000000047E4: D3B04006 1C209D06
	v_pk_mul_f32 v[4:5], v[4:5], v[96:97]                      // 0000000047EC: D3B14004 1802C104
	v_pk_mul_f32 v[6:7], v[6:7], v[98:99]                      // 0000000047F4: D3B14006 1802C506
	v_pk_mul_f32 v[4:5], v[4:5], s[60:61]                      // 0000000047FC: D3B14004 18007904
	v_pk_mul_f32 v[6:7], v[6:7], s[60:61]                      // 000000004804: D3B14006 18007906
	v_exp_f32_e32 v4, v4                                       // 00000000480C: 7E084104
	v_exp_f32_e32 v5, v5                                       // 000000004810: 7E0A4105
	v_exp_f32_e32 v6, v6                                       // 000000004814: 7E0C4106
	v_exp_f32_e32 v7, v7                                       // 000000004818: 7E0E4107
	v_add_f32_e64 v4, v4, 1.0                                  // 00000000481C: D1010004 0001E504
	v_add_f32_e64 v5, v5, 1.0                                  // 000000004824: D1010005 0001E505
	v_add_f32_e64 v6, v6, 1.0                                  // 00000000482C: D1010006 0001E506
	v_add_f32_e64 v7, v7, 1.0                                  // 000000004834: D1010007 0001E507
	v_rcp_f32_e32 v4, v4                                       // 00000000483C: 7E084504
	v_rcp_f32_e32 v5, v5                                       // 000000004840: 7E0A4505
	v_rcp_f32_e32 v6, v6                                       // 000000004844: 7E0C4506
	v_rcp_f32_e32 v7, v7                                       // 000000004848: 7E0E4507
	v_mul_f32_e32 v96, v96, v4                                 // 00000000484C: 0AC00960
	v_mul_f32_e32 v97, v97, v5                                 // 000000004850: 0AC20B61
	v_mul_f32_e32 v98, v98, v6                                 // 000000004854: 0AC40D62
	v_mul_f32_e32 v99, v99, v7                                 // 000000004858: 0AC60F63
	v_mul_f32_e32 v96, v96, v136                               // 00000000485C: 0AC11160
	v_mul_f32_e32 v97, v97, v137                               // 000000004860: 0AC31361
	v_mul_f32_e32 v98, v98, v138                               // 000000004864: 0AC51562
	v_mul_f32_e32 v99, v99, v139                               // 000000004868: 0AC71763
	v_pk_mul_f32 v[4:5], v[100:101], v[100:101]                // 00000000486C: D3B14004 1802C964
	v_pk_mul_f32 v[6:7], v[102:103], v[102:103]                // 000000004874: D3B14006 1802CD66
	v_pk_fma_f32 v[4:5], v[4:5], s[78:79], v[8:9]              // 00000000487C: D3B04004 1C209D04
	v_pk_fma_f32 v[6:7], v[6:7], s[78:79], v[8:9]              // 000000004884: D3B04006 1C209D06
	v_pk_mul_f32 v[4:5], v[4:5], v[100:101]                    // 00000000488C: D3B14004 1802C904
	v_pk_mul_f32 v[6:7], v[6:7], v[102:103]                    // 000000004894: D3B14006 1802CD06
	v_pk_mul_f32 v[4:5], v[4:5], s[60:61]                      // 00000000489C: D3B14004 18007904
	v_pk_mul_f32 v[6:7], v[6:7], s[60:61]                      // 0000000048A4: D3B14006 18007906
	v_exp_f32_e32 v4, v4                                       // 0000000048AC: 7E084104
	v_exp_f32_e32 v5, v5                                       // 0000000048B0: 7E0A4105
	v_exp_f32_e32 v6, v6                                       // 0000000048B4: 7E0C4106
	v_exp_f32_e32 v7, v7                                       // 0000000048B8: 7E0E4107
	v_add_f32_e64 v4, v4, 1.0                                  // 0000000048BC: D1010004 0001E504
	v_add_f32_e64 v5, v5, 1.0                                  // 0000000048C4: D1010005 0001E505
	v_add_f32_e64 v6, v6, 1.0                                  // 0000000048CC: D1010006 0001E506
	v_add_f32_e64 v7, v7, 1.0                                  // 0000000048D4: D1010007 0001E507
	v_rcp_f32_e32 v4, v4                                       // 0000000048DC: 7E084504
	v_rcp_f32_e32 v5, v5                                       // 0000000048E0: 7E0A4505
	v_rcp_f32_e32 v6, v6                                       // 0000000048E4: 7E0C4506
	v_rcp_f32_e32 v7, v7                                       // 0000000048E8: 7E0E4507
	v_mul_f32_e32 v100, v100, v4                               // 0000000048EC: 0AC80964
	v_mul_f32_e32 v101, v101, v5                               // 0000000048F0: 0ACA0B65
	v_mul_f32_e32 v102, v102, v6                               // 0000000048F4: 0ACC0D66
	v_mul_f32_e32 v103, v103, v7                               // 0000000048F8: 0ACE0F67
	v_mul_f32_e32 v100, v100, v140                             // 0000000048FC: 0AC91964
	v_mul_f32_e32 v101, v101, v141                             // 000000004900: 0ACB1B65
	v_mul_f32_e32 v102, v102, v142                             // 000000004904: 0ACD1D66
	v_mul_f32_e32 v103, v103, v143                             // 000000004908: 0ACF1F67
	v_pk_mul_f32 v[4:5], v[104:105], v[104:105]                // 00000000490C: D3B14004 1802D168
	v_pk_mul_f32 v[6:7], v[106:107], v[106:107]                // 000000004914: D3B14006 1802D56A
	v_pk_fma_f32 v[4:5], v[4:5], s[78:79], v[8:9]              // 00000000491C: D3B04004 1C209D04
	v_pk_fma_f32 v[6:7], v[6:7], s[78:79], v[8:9]              // 000000004924: D3B04006 1C209D06
	v_pk_mul_f32 v[4:5], v[4:5], v[104:105]                    // 00000000492C: D3B14004 1802D104
	v_pk_mul_f32 v[6:7], v[6:7], v[106:107]                    // 000000004934: D3B14006 1802D506
	v_pk_mul_f32 v[4:5], v[4:5], s[60:61]                      // 00000000493C: D3B14004 18007904
	v_pk_mul_f32 v[6:7], v[6:7], s[60:61]                      // 000000004944: D3B14006 18007906
	v_exp_f32_e32 v4, v4                                       // 00000000494C: 7E084104
	v_exp_f32_e32 v5, v5                                       // 000000004950: 7E0A4105
	v_exp_f32_e32 v6, v6                                       // 000000004954: 7E0C4106
	v_exp_f32_e32 v7, v7                                       // 000000004958: 7E0E4107
	v_add_f32_e64 v4, v4, 1.0                                  // 00000000495C: D1010004 0001E504
	v_add_f32_e64 v5, v5, 1.0                                  // 000000004964: D1010005 0001E505
	v_add_f32_e64 v6, v6, 1.0                                  // 00000000496C: D1010006 0001E506
	v_add_f32_e64 v7, v7, 1.0                                  // 000000004974: D1010007 0001E507
	v_rcp_f32_e32 v4, v4                                       // 00000000497C: 7E084504
	v_rcp_f32_e32 v5, v5                                       // 000000004980: 7E0A4505
	v_rcp_f32_e32 v6, v6                                       // 000000004984: 7E0C4506
	v_rcp_f32_e32 v7, v7                                       // 000000004988: 7E0E4507
	v_mul_f32_e32 v104, v104, v4                               // 00000000498C: 0AD00968
	v_mul_f32_e32 v105, v105, v5                               // 000000004990: 0AD20B69
	v_mul_f32_e32 v106, v106, v6                               // 000000004994: 0AD40D6A
	v_mul_f32_e32 v107, v107, v7                               // 000000004998: 0AD60F6B
	v_mul_f32_e32 v104, v104, v144                             // 00000000499C: 0AD12168
	v_mul_f32_e32 v105, v105, v145                             // 0000000049A0: 0AD32369
	v_mul_f32_e32 v106, v106, v146                             // 0000000049A4: 0AD5256A
	v_mul_f32_e32 v107, v107, v147                             // 0000000049A8: 0AD7276B
	v_pk_mul_f32 v[4:5], v[108:109], v[108:109]                // 0000000049AC: D3B14004 1802D96C
	v_pk_mul_f32 v[6:7], v[110:111], v[110:111]                // 0000000049B4: D3B14006 1802DD6E
	v_pk_fma_f32 v[4:5], v[4:5], s[78:79], v[8:9]              // 0000000049BC: D3B04004 1C209D04
	v_pk_fma_f32 v[6:7], v[6:7], s[78:79], v[8:9]              // 0000000049C4: D3B04006 1C209D06
	v_pk_mul_f32 v[4:5], v[4:5], v[108:109]                    // 0000000049CC: D3B14004 1802D904
	v_pk_mul_f32 v[6:7], v[6:7], v[110:111]                    // 0000000049D4: D3B14006 1802DD06
	v_pk_mul_f32 v[4:5], v[4:5], s[60:61]                      // 0000000049DC: D3B14004 18007904
	v_pk_mul_f32 v[6:7], v[6:7], s[60:61]                      // 0000000049E4: D3B14006 18007906
	v_exp_f32_e32 v4, v4                                       // 0000000049EC: 7E084104
	v_exp_f32_e32 v5, v5                                       // 0000000049F0: 7E0A4105
	v_exp_f32_e32 v6, v6                                       // 0000000049F4: 7E0C4106
	v_exp_f32_e32 v7, v7                                       // 0000000049F8: 7E0E4107
	v_add_f32_e64 v4, v4, 1.0                                  // 0000000049FC: D1010004 0001E504
	v_add_f32_e64 v5, v5, 1.0                                  // 000000004A04: D1010005 0001E505
	v_add_f32_e64 v6, v6, 1.0                                  // 000000004A0C: D1010006 0001E506
	v_add_f32_e64 v7, v7, 1.0                                  // 000000004A14: D1010007 0001E507
	v_rcp_f32_e32 v4, v4                                       // 000000004A1C: 7E084504
	v_rcp_f32_e32 v5, v5                                       // 000000004A20: 7E0A4505
	v_rcp_f32_e32 v6, v6                                       // 000000004A24: 7E0C4506
	v_rcp_f32_e32 v7, v7                                       // 000000004A28: 7E0E4507
	v_mul_f32_e32 v108, v108, v4                               // 000000004A2C: 0AD8096C
	v_mul_f32_e32 v109, v109, v5                               // 000000004A30: 0ADA0B6D
	v_mul_f32_e32 v110, v110, v6                               // 000000004A34: 0ADC0D6E
	v_mul_f32_e32 v111, v111, v7                               // 000000004A38: 0ADE0F6F
	v_mul_f32_e32 v108, v108, v148                             // 000000004A3C: 0AD9296C
	v_mul_f32_e32 v109, v109, v149                             // 000000004A40: 0ADB2B6D
	v_mul_f32_e32 v110, v110, v150                             // 000000004A44: 0ADD2D6E
	v_mul_f32_e32 v111, v111, v151                             // 000000004A48: 0ADF2F6F
	v_pk_mul_f32 v[4:5], v[112:113], v[112:113]                // 000000004A4C: D3B14004 1802E170
	v_pk_mul_f32 v[6:7], v[114:115], v[114:115]                // 000000004A54: D3B14006 1802E572
	v_pk_fma_f32 v[4:5], v[4:5], s[78:79], v[8:9]              // 000000004A5C: D3B04004 1C209D04
	v_pk_fma_f32 v[6:7], v[6:7], s[78:79], v[8:9]              // 000000004A64: D3B04006 1C209D06
	v_pk_mul_f32 v[4:5], v[4:5], v[112:113]                    // 000000004A6C: D3B14004 1802E104
	v_pk_mul_f32 v[6:7], v[6:7], v[114:115]                    // 000000004A74: D3B14006 1802E506
	v_pk_mul_f32 v[4:5], v[4:5], s[60:61]                      // 000000004A7C: D3B14004 18007904
	v_pk_mul_f32 v[6:7], v[6:7], s[60:61]                      // 000000004A84: D3B14006 18007906
	v_exp_f32_e32 v4, v4                                       // 000000004A8C: 7E084104
	v_exp_f32_e32 v5, v5                                       // 000000004A90: 7E0A4105
	v_exp_f32_e32 v6, v6                                       // 000000004A94: 7E0C4106
	v_exp_f32_e32 v7, v7                                       // 000000004A98: 7E0E4107
	v_add_f32_e64 v4, v4, 1.0                                  // 000000004A9C: D1010004 0001E504
	v_add_f32_e64 v5, v5, 1.0                                  // 000000004AA4: D1010005 0001E505
	v_add_f32_e64 v6, v6, 1.0                                  // 000000004AAC: D1010006 0001E506
	v_add_f32_e64 v7, v7, 1.0                                  // 000000004AB4: D1010007 0001E507
	v_rcp_f32_e32 v4, v4                                       // 000000004ABC: 7E084504
	v_rcp_f32_e32 v5, v5                                       // 000000004AC0: 7E0A4505
	v_rcp_f32_e32 v6, v6                                       // 000000004AC4: 7E0C4506
	v_rcp_f32_e32 v7, v7                                       // 000000004AC8: 7E0E4507
	v_mul_f32_e32 v112, v112, v4                               // 000000004ACC: 0AE00970
	v_mul_f32_e32 v113, v113, v5                               // 000000004AD0: 0AE20B71
	v_mul_f32_e32 v114, v114, v6                               // 000000004AD4: 0AE40D72
	v_mul_f32_e32 v115, v115, v7                               // 000000004AD8: 0AE60F73
	v_mul_f32_e32 v112, v112, v152                             // 000000004ADC: 0AE13170
	v_mul_f32_e32 v113, v113, v153                             // 000000004AE0: 0AE33371
	v_mul_f32_e32 v114, v114, v154                             // 000000004AE4: 0AE53572
	v_mul_f32_e32 v115, v115, v155                             // 000000004AE8: 0AE73773
	v_pk_mul_f32 v[4:5], v[116:117], v[116:117]                // 000000004AEC: D3B14004 1802E974
	v_pk_mul_f32 v[6:7], v[118:119], v[118:119]                // 000000004AF4: D3B14006 1802ED76
	v_pk_fma_f32 v[4:5], v[4:5], s[78:79], v[8:9]              // 000000004AFC: D3B04004 1C209D04
	v_pk_fma_f32 v[6:7], v[6:7], s[78:79], v[8:9]              // 000000004B04: D3B04006 1C209D06
	v_pk_mul_f32 v[4:5], v[4:5], v[116:117]                    // 000000004B0C: D3B14004 1802E904
	v_pk_mul_f32 v[6:7], v[6:7], v[118:119]                    // 000000004B14: D3B14006 1802ED06
	v_pk_mul_f32 v[4:5], v[4:5], s[60:61]                      // 000000004B1C: D3B14004 18007904
	v_pk_mul_f32 v[6:7], v[6:7], s[60:61]                      // 000000004B24: D3B14006 18007906
	v_exp_f32_e32 v4, v4                                       // 000000004B2C: 7E084104
	v_exp_f32_e32 v5, v5                                       // 000000004B30: 7E0A4105
	v_exp_f32_e32 v6, v6                                       // 000000004B34: 7E0C4106
	v_exp_f32_e32 v7, v7                                       // 000000004B38: 7E0E4107
	v_add_f32_e64 v4, v4, 1.0                                  // 000000004B3C: D1010004 0001E504
	v_add_f32_e64 v5, v5, 1.0                                  // 000000004B44: D1010005 0001E505
	v_add_f32_e64 v6, v6, 1.0                                  // 000000004B4C: D1010006 0001E506
	v_add_f32_e64 v7, v7, 1.0                                  // 000000004B54: D1010007 0001E507
	v_rcp_f32_e32 v4, v4                                       // 000000004B5C: 7E084504
	v_rcp_f32_e32 v5, v5                                       // 000000004B60: 7E0A4505
	v_rcp_f32_e32 v6, v6                                       // 000000004B64: 7E0C4506
	v_rcp_f32_e32 v7, v7                                       // 000000004B68: 7E0E4507
	v_mul_f32_e32 v116, v116, v4                               // 000000004B6C: 0AE80974
	v_mul_f32_e32 v117, v117, v5                               // 000000004B70: 0AEA0B75
	v_mul_f32_e32 v118, v118, v6                               // 000000004B74: 0AEC0D76
	v_mul_f32_e32 v119, v119, v7                               // 000000004B78: 0AEE0F77
	v_mul_f32_e32 v116, v116, v156                             // 000000004B7C: 0AE93974
	v_mul_f32_e32 v117, v117, v157                             // 000000004B80: 0AEB3B75
	v_mul_f32_e32 v118, v118, v158                             // 000000004B84: 0AED3D76
	v_mul_f32_e32 v119, v119, v159                             // 000000004B88: 0AEF3F77
	v_pk_mul_f32 v[4:5], v[120:121], v[120:121]                // 000000004B8C: D3B14004 1802F178
	v_pk_mul_f32 v[6:7], v[122:123], v[122:123]                // 000000004B94: D3B14006 1802F57A
	v_pk_fma_f32 v[4:5], v[4:5], s[78:79], v[8:9]              // 000000004B9C: D3B04004 1C209D04
	v_pk_fma_f32 v[6:7], v[6:7], s[78:79], v[8:9]              // 000000004BA4: D3B04006 1C209D06
	v_pk_mul_f32 v[4:5], v[4:5], v[120:121]                    // 000000004BAC: D3B14004 1802F104
	v_pk_mul_f32 v[6:7], v[6:7], v[122:123]                    // 000000004BB4: D3B14006 1802F506
	v_pk_mul_f32 v[4:5], v[4:5], s[60:61]                      // 000000004BBC: D3B14004 18007904
	v_pk_mul_f32 v[6:7], v[6:7], s[60:61]                      // 000000004BC4: D3B14006 18007906
	v_exp_f32_e32 v4, v4                                       // 000000004BCC: 7E084104
	v_exp_f32_e32 v5, v5                                       // 000000004BD0: 7E0A4105
	v_exp_f32_e32 v6, v6                                       // 000000004BD4: 7E0C4106
	v_exp_f32_e32 v7, v7                                       // 000000004BD8: 7E0E4107
	v_add_f32_e64 v4, v4, 1.0                                  // 000000004BDC: D1010004 0001E504
	v_add_f32_e64 v5, v5, 1.0                                  // 000000004BE4: D1010005 0001E505
	v_add_f32_e64 v6, v6, 1.0                                  // 000000004BEC: D1010006 0001E506
	v_add_f32_e64 v7, v7, 1.0                                  // 000000004BF4: D1010007 0001E507
	v_rcp_f32_e32 v4, v4                                       // 000000004BFC: 7E084504
	v_rcp_f32_e32 v5, v5                                       // 000000004C00: 7E0A4505
	v_rcp_f32_e32 v6, v6                                       // 000000004C04: 7E0C4506
	v_rcp_f32_e32 v7, v7                                       // 000000004C08: 7E0E4507
	v_mul_f32_e32 v120, v120, v4                               // 000000004C0C: 0AF00978
	v_mul_f32_e32 v121, v121, v5                               // 000000004C10: 0AF20B79
	v_mul_f32_e32 v122, v122, v6                               // 000000004C14: 0AF40D7A
	v_mul_f32_e32 v123, v123, v7                               // 000000004C18: 0AF60F7B
	v_mul_f32_e32 v120, v120, v160                             // 000000004C1C: 0AF14178
	v_mul_f32_e32 v121, v121, v161                             // 000000004C20: 0AF34379
	v_mul_f32_e32 v122, v122, v162                             // 000000004C24: 0AF5457A
	v_mul_f32_e32 v123, v123, v163                             // 000000004C28: 0AF7477B
	v_pk_mul_f32 v[4:5], v[124:125], v[124:125]                // 000000004C2C: D3B14004 1802F97C
	v_pk_mul_f32 v[6:7], v[126:127], v[126:127]                // 000000004C34: D3B14006 1802FD7E
	v_pk_fma_f32 v[4:5], v[4:5], s[78:79], v[8:9]              // 000000004C3C: D3B04004 1C209D04
	v_pk_fma_f32 v[6:7], v[6:7], s[78:79], v[8:9]              // 000000004C44: D3B04006 1C209D06
	v_pk_mul_f32 v[4:5], v[4:5], v[124:125]                    // 000000004C4C: D3B14004 1802F904
	v_pk_mul_f32 v[6:7], v[6:7], v[126:127]                    // 000000004C54: D3B14006 1802FD06
	v_pk_mul_f32 v[4:5], v[4:5], s[60:61]                      // 000000004C5C: D3B14004 18007904
	v_pk_mul_f32 v[6:7], v[6:7], s[60:61]                      // 000000004C64: D3B14006 18007906
	v_exp_f32_e32 v4, v4                                       // 000000004C6C: 7E084104
	v_exp_f32_e32 v5, v5                                       // 000000004C70: 7E0A4105
	v_exp_f32_e32 v6, v6                                       // 000000004C74: 7E0C4106
	v_exp_f32_e32 v7, v7                                       // 000000004C78: 7E0E4107
	v_add_f32_e64 v4, v4, 1.0                                  // 000000004C7C: D1010004 0001E504
	v_add_f32_e64 v5, v5, 1.0                                  // 000000004C84: D1010005 0001E505
	v_add_f32_e64 v6, v6, 1.0                                  // 000000004C8C: D1010006 0001E506
	v_add_f32_e64 v7, v7, 1.0                                  // 000000004C94: D1010007 0001E507
	v_rcp_f32_e32 v4, v4                                       // 000000004C9C: 7E084504
	v_rcp_f32_e32 v5, v5                                       // 000000004CA0: 7E0A4505
	v_rcp_f32_e32 v6, v6                                       // 000000004CA4: 7E0C4506
	v_rcp_f32_e32 v7, v7                                       // 000000004CA8: 7E0E4507
	v_mul_f32_e32 v124, v124, v4                               // 000000004CAC: 0AF8097C
	v_mul_f32_e32 v125, v125, v5                               // 000000004CB0: 0AFA0B7D
	v_mul_f32_e32 v126, v126, v6                               // 000000004CB4: 0AFC0D7E
	v_mul_f32_e32 v127, v127, v7                               // 000000004CB8: 0AFE0F7F
	v_mul_f32_e32 v124, v124, v164                             // 000000004CBC: 0AF9497C
	v_mul_f32_e32 v125, v125, v165                             // 000000004CC0: 0AFB4B7D
	v_mul_f32_e32 v126, v126, v166                             // 000000004CC4: 0AFD4D7E
	v_mul_f32_e32 v127, v127, v167                             // 000000004CC8: 0AFF4F7F
	v_pk_mul_f32 v[4:5], v[128:129], v[128:129]                // 000000004CCC: D3B14004 18030180
	v_pk_mul_f32 v[6:7], v[130:131], v[130:131]                // 000000004CD4: D3B14006 18030582
	v_pk_fma_f32 v[4:5], v[4:5], s[78:79], v[8:9]              // 000000004CDC: D3B04004 1C209D04
	v_pk_fma_f32 v[6:7], v[6:7], s[78:79], v[8:9]              // 000000004CE4: D3B04006 1C209D06
	v_pk_mul_f32 v[4:5], v[4:5], v[128:129]                    // 000000004CEC: D3B14004 18030104
	v_pk_mul_f32 v[6:7], v[6:7], v[130:131]                    // 000000004CF4: D3B14006 18030506
	v_pk_mul_f32 v[4:5], v[4:5], s[60:61]                      // 000000004CFC: D3B14004 18007904
	v_pk_mul_f32 v[6:7], v[6:7], s[60:61]                      // 000000004D04: D3B14006 18007906
	v_exp_f32_e32 v4, v4                                       // 000000004D0C: 7E084104
	v_exp_f32_e32 v5, v5                                       // 000000004D10: 7E0A4105
	v_exp_f32_e32 v6, v6                                       // 000000004D14: 7E0C4106
	v_exp_f32_e32 v7, v7                                       // 000000004D18: 7E0E4107
	v_add_f32_e64 v4, v4, 1.0                                  // 000000004D1C: D1010004 0001E504
	v_add_f32_e64 v5, v5, 1.0                                  // 000000004D24: D1010005 0001E505
	v_add_f32_e64 v6, v6, 1.0                                  // 000000004D2C: D1010006 0001E506
	v_add_f32_e64 v7, v7, 1.0                                  // 000000004D34: D1010007 0001E507
	v_rcp_f32_e32 v4, v4                                       // 000000004D3C: 7E084504
	v_rcp_f32_e32 v5, v5                                       // 000000004D40: 7E0A4505
	v_rcp_f32_e32 v6, v6                                       // 000000004D44: 7E0C4506
	v_rcp_f32_e32 v7, v7                                       // 000000004D48: 7E0E4507
	v_mul_f32_e32 v128, v128, v4                               // 000000004D4C: 0B000980
	v_mul_f32_e32 v129, v129, v5                               // 000000004D50: 0B020B81
	v_mul_f32_e32 v130, v130, v6                               // 000000004D54: 0B040D82
	v_mul_f32_e32 v131, v131, v7                               // 000000004D58: 0B060F83
	v_mul_f32_e32 v128, v128, v168                             // 000000004D5C: 0B015180
	v_mul_f32_e32 v129, v129, v169                             // 000000004D60: 0B035381
	v_mul_f32_e32 v130, v130, v170                             // 000000004D64: 0B055582
	v_mul_f32_e32 v131, v131, v171                             // 000000004D68: 0B075783
	s_branch label_0A1C                                        // 000000004D6C: BF820140

0000000000004d70 <label_08DC>:
	v_mul_f32_e64 v4, -v92, s6                                 // 000000004D70: D1050004 20000D5C
	v_mul_f32_e64 v5, -v93, s6                                 // 000000004D78: D1050005 20000D5D
	v_mul_f32_e64 v6, -v94, s6                                 // 000000004D80: D1050006 20000D5E
	v_mul_f32_e64 v7, -v95, s6                                 // 000000004D88: D1050007 20000D5F
	v_exp_f32_e32 v4, v4                                       // 000000004D90: 7E084104
	v_exp_f32_e32 v5, v5                                       // 000000004D94: 7E0A4105
	v_exp_f32_e32 v6, v6                                       // 000000004D98: 7E0C4106
	v_exp_f32_e32 v7, v7                                       // 000000004D9C: 7E0E4107
	v_add_f32_e64 v4, v4, 1.0                                  // 000000004DA0: D1010004 0001E504
	v_add_f32_e64 v5, v5, 1.0                                  // 000000004DA8: D1010005 0001E505
	v_add_f32_e64 v6, v6, 1.0                                  // 000000004DB0: D1010006 0001E506
	v_add_f32_e64 v7, v7, 1.0                                  // 000000004DB8: D1010007 0001E507
	v_rcp_f32_e32 v4, v4                                       // 000000004DC0: 7E084504
	v_rcp_f32_e32 v5, v5                                       // 000000004DC4: 7E0A4505
	v_rcp_f32_e32 v6, v6                                       // 000000004DC8: 7E0C4506
	v_rcp_f32_e32 v7, v7                                       // 000000004DCC: 7E0E4507
	v_mul_f32_e32 v92, v92, v4                                 // 000000004DD0: 0AB8095C
	v_mul_f32_e32 v93, v93, v5                                 // 000000004DD4: 0ABA0B5D
	v_mul_f32_e32 v94, v94, v6                                 // 000000004DD8: 0ABC0D5E
	v_mul_f32_e32 v95, v95, v7                                 // 000000004DDC: 0ABE0F5F
	v_mul_f32_e32 v92, v92, v132                               // 000000004DE0: 0AB9095C
	v_mul_f32_e32 v93, v93, v133                               // 000000004DE4: 0ABB0B5D
	v_mul_f32_e32 v94, v94, v134                               // 000000004DE8: 0ABD0D5E
	v_mul_f32_e32 v95, v95, v135                               // 000000004DEC: 0ABF0F5F
	v_mul_f32_e64 v4, -v96, s6                                 // 000000004DF0: D1050004 20000D60
	v_mul_f32_e64 v5, -v97, s6                                 // 000000004DF8: D1050005 20000D61
	v_mul_f32_e64 v6, -v98, s6                                 // 000000004E00: D1050006 20000D62
	v_mul_f32_e64 v7, -v99, s6                                 // 000000004E08: D1050007 20000D63
	v_exp_f32_e32 v4, v4                                       // 000000004E10: 7E084104
	v_exp_f32_e32 v5, v5                                       // 000000004E14: 7E0A4105
	v_exp_f32_e32 v6, v6                                       // 000000004E18: 7E0C4106
	v_exp_f32_e32 v7, v7                                       // 000000004E1C: 7E0E4107
	v_add_f32_e64 v4, v4, 1.0                                  // 000000004E20: D1010004 0001E504
	v_add_f32_e64 v5, v5, 1.0                                  // 000000004E28: D1010005 0001E505
	v_add_f32_e64 v6, v6, 1.0                                  // 000000004E30: D1010006 0001E506
	v_add_f32_e64 v7, v7, 1.0                                  // 000000004E38: D1010007 0001E507
	v_rcp_f32_e32 v4, v4                                       // 000000004E40: 7E084504
	v_rcp_f32_e32 v5, v5                                       // 000000004E44: 7E0A4505
	v_rcp_f32_e32 v6, v6                                       // 000000004E48: 7E0C4506
	v_rcp_f32_e32 v7, v7                                       // 000000004E4C: 7E0E4507
	v_mul_f32_e32 v96, v96, v4                                 // 000000004E50: 0AC00960
	v_mul_f32_e32 v97, v97, v5                                 // 000000004E54: 0AC20B61
	v_mul_f32_e32 v98, v98, v6                                 // 000000004E58: 0AC40D62
	v_mul_f32_e32 v99, v99, v7                                 // 000000004E5C: 0AC60F63
	v_mul_f32_e32 v96, v96, v136                               // 000000004E60: 0AC11160
	v_mul_f32_e32 v97, v97, v137                               // 000000004E64: 0AC31361
	v_mul_f32_e32 v98, v98, v138                               // 000000004E68: 0AC51562
	v_mul_f32_e32 v99, v99, v139                               // 000000004E6C: 0AC71763
	v_mul_f32_e64 v4, -v100, s6                                // 000000004E70: D1050004 20000D64
	v_mul_f32_e64 v5, -v101, s6                                // 000000004E78: D1050005 20000D65
	v_mul_f32_e64 v6, -v102, s6                                // 000000004E80: D1050006 20000D66
	v_mul_f32_e64 v7, -v103, s6                                // 000000004E88: D1050007 20000D67
	v_exp_f32_e32 v4, v4                                       // 000000004E90: 7E084104
	v_exp_f32_e32 v5, v5                                       // 000000004E94: 7E0A4105
	v_exp_f32_e32 v6, v6                                       // 000000004E98: 7E0C4106
	v_exp_f32_e32 v7, v7                                       // 000000004E9C: 7E0E4107
	v_add_f32_e64 v4, v4, 1.0                                  // 000000004EA0: D1010004 0001E504
	v_add_f32_e64 v5, v5, 1.0                                  // 000000004EA8: D1010005 0001E505
	v_add_f32_e64 v6, v6, 1.0                                  // 000000004EB0: D1010006 0001E506
	v_add_f32_e64 v7, v7, 1.0                                  // 000000004EB8: D1010007 0001E507
	v_rcp_f32_e32 v4, v4                                       // 000000004EC0: 7E084504
	v_rcp_f32_e32 v5, v5                                       // 000000004EC4: 7E0A4505
	v_rcp_f32_e32 v6, v6                                       // 000000004EC8: 7E0C4506
	v_rcp_f32_e32 v7, v7                                       // 000000004ECC: 7E0E4507
	v_mul_f32_e32 v100, v100, v4                               // 000000004ED0: 0AC80964
	v_mul_f32_e32 v101, v101, v5                               // 000000004ED4: 0ACA0B65
	v_mul_f32_e32 v102, v102, v6                               // 000000004ED8: 0ACC0D66
	v_mul_f32_e32 v103, v103, v7                               // 000000004EDC: 0ACE0F67
	v_mul_f32_e32 v100, v100, v140                             // 000000004EE0: 0AC91964
	v_mul_f32_e32 v101, v101, v141                             // 000000004EE4: 0ACB1B65
	v_mul_f32_e32 v102, v102, v142                             // 000000004EE8: 0ACD1D66
	v_mul_f32_e32 v103, v103, v143                             // 000000004EEC: 0ACF1F67
	v_mul_f32_e64 v4, -v104, s6                                // 000000004EF0: D1050004 20000D68
	v_mul_f32_e64 v5, -v105, s6                                // 000000004EF8: D1050005 20000D69
	v_mul_f32_e64 v6, -v106, s6                                // 000000004F00: D1050006 20000D6A
	v_mul_f32_e64 v7, -v107, s6                                // 000000004F08: D1050007 20000D6B
	v_exp_f32_e32 v4, v4                                       // 000000004F10: 7E084104
	v_exp_f32_e32 v5, v5                                       // 000000004F14: 7E0A4105
	v_exp_f32_e32 v6, v6                                       // 000000004F18: 7E0C4106
	v_exp_f32_e32 v7, v7                                       // 000000004F1C: 7E0E4107
	v_add_f32_e64 v4, v4, 1.0                                  // 000000004F20: D1010004 0001E504
	v_add_f32_e64 v5, v5, 1.0                                  // 000000004F28: D1010005 0001E505
	v_add_f32_e64 v6, v6, 1.0                                  // 000000004F30: D1010006 0001E506
	v_add_f32_e64 v7, v7, 1.0                                  // 000000004F38: D1010007 0001E507
	v_rcp_f32_e32 v4, v4                                       // 000000004F40: 7E084504
	v_rcp_f32_e32 v5, v5                                       // 000000004F44: 7E0A4505
	v_rcp_f32_e32 v6, v6                                       // 000000004F48: 7E0C4506
	v_rcp_f32_e32 v7, v7                                       // 000000004F4C: 7E0E4507
	v_mul_f32_e32 v104, v104, v4                               // 000000004F50: 0AD00968
	v_mul_f32_e32 v105, v105, v5                               // 000000004F54: 0AD20B69
	v_mul_f32_e32 v106, v106, v6                               // 000000004F58: 0AD40D6A
	v_mul_f32_e32 v107, v107, v7                               // 000000004F5C: 0AD60F6B
	v_mul_f32_e32 v104, v104, v144                             // 000000004F60: 0AD12168
	v_mul_f32_e32 v105, v105, v145                             // 000000004F64: 0AD32369
	v_mul_f32_e32 v106, v106, v146                             // 000000004F68: 0AD5256A
	v_mul_f32_e32 v107, v107, v147                             // 000000004F6C: 0AD7276B
	v_mul_f32_e64 v4, -v108, s6                                // 000000004F70: D1050004 20000D6C
	v_mul_f32_e64 v5, -v109, s6                                // 000000004F78: D1050005 20000D6D
	v_mul_f32_e64 v6, -v110, s6                                // 000000004F80: D1050006 20000D6E
	v_mul_f32_e64 v7, -v111, s6                                // 000000004F88: D1050007 20000D6F
	v_exp_f32_e32 v4, v4                                       // 000000004F90: 7E084104
	v_exp_f32_e32 v5, v5                                       // 000000004F94: 7E0A4105
	v_exp_f32_e32 v6, v6                                       // 000000004F98: 7E0C4106
	v_exp_f32_e32 v7, v7                                       // 000000004F9C: 7E0E4107
	v_add_f32_e64 v4, v4, 1.0                                  // 000000004FA0: D1010004 0001E504
	v_add_f32_e64 v5, v5, 1.0                                  // 000000004FA8: D1010005 0001E505
	v_add_f32_e64 v6, v6, 1.0                                  // 000000004FB0: D1010006 0001E506
	v_add_f32_e64 v7, v7, 1.0                                  // 000000004FB8: D1010007 0001E507
	v_rcp_f32_e32 v4, v4                                       // 000000004FC0: 7E084504
	v_rcp_f32_e32 v5, v5                                       // 000000004FC4: 7E0A4505
	v_rcp_f32_e32 v6, v6                                       // 000000004FC8: 7E0C4506
	v_rcp_f32_e32 v7, v7                                       // 000000004FCC: 7E0E4507
	v_mul_f32_e32 v108, v108, v4                               // 000000004FD0: 0AD8096C
	v_mul_f32_e32 v109, v109, v5                               // 000000004FD4: 0ADA0B6D
	v_mul_f32_e32 v110, v110, v6                               // 000000004FD8: 0ADC0D6E
	v_mul_f32_e32 v111, v111, v7                               // 000000004FDC: 0ADE0F6F
	v_mul_f32_e32 v108, v108, v148                             // 000000004FE0: 0AD9296C
	v_mul_f32_e32 v109, v109, v149                             // 000000004FE4: 0ADB2B6D
	v_mul_f32_e32 v110, v110, v150                             // 000000004FE8: 0ADD2D6E
	v_mul_f32_e32 v111, v111, v151                             // 000000004FEC: 0ADF2F6F
	v_mul_f32_e64 v4, -v112, s6                                // 000000004FF0: D1050004 20000D70
	v_mul_f32_e64 v5, -v113, s6                                // 000000004FF8: D1050005 20000D71
	v_mul_f32_e64 v6, -v114, s6                                // 000000005000: D1050006 20000D72
	v_mul_f32_e64 v7, -v115, s6                                // 000000005008: D1050007 20000D73
	v_exp_f32_e32 v4, v4                                       // 000000005010: 7E084104
	v_exp_f32_e32 v5, v5                                       // 000000005014: 7E0A4105
	v_exp_f32_e32 v6, v6                                       // 000000005018: 7E0C4106
	v_exp_f32_e32 v7, v7                                       // 00000000501C: 7E0E4107
	v_add_f32_e64 v4, v4, 1.0                                  // 000000005020: D1010004 0001E504
	v_add_f32_e64 v5, v5, 1.0                                  // 000000005028: D1010005 0001E505
	v_add_f32_e64 v6, v6, 1.0                                  // 000000005030: D1010006 0001E506
	v_add_f32_e64 v7, v7, 1.0                                  // 000000005038: D1010007 0001E507
	v_rcp_f32_e32 v4, v4                                       // 000000005040: 7E084504
	v_rcp_f32_e32 v5, v5                                       // 000000005044: 7E0A4505
	v_rcp_f32_e32 v6, v6                                       // 000000005048: 7E0C4506
	v_rcp_f32_e32 v7, v7                                       // 00000000504C: 7E0E4507
	v_mul_f32_e32 v112, v112, v4                               // 000000005050: 0AE00970
	v_mul_f32_e32 v113, v113, v5                               // 000000005054: 0AE20B71
	v_mul_f32_e32 v114, v114, v6                               // 000000005058: 0AE40D72
	v_mul_f32_e32 v115, v115, v7                               // 00000000505C: 0AE60F73
	v_mul_f32_e32 v112, v112, v152                             // 000000005060: 0AE13170
	v_mul_f32_e32 v113, v113, v153                             // 000000005064: 0AE33371
	v_mul_f32_e32 v114, v114, v154                             // 000000005068: 0AE53572
	v_mul_f32_e32 v115, v115, v155                             // 00000000506C: 0AE73773
	v_mul_f32_e64 v4, -v116, s6                                // 000000005070: D1050004 20000D74
	v_mul_f32_e64 v5, -v117, s6                                // 000000005078: D1050005 20000D75
	v_mul_f32_e64 v6, -v118, s6                                // 000000005080: D1050006 20000D76
	v_mul_f32_e64 v7, -v119, s6                                // 000000005088: D1050007 20000D77
	v_exp_f32_e32 v4, v4                                       // 000000005090: 7E084104
	v_exp_f32_e32 v5, v5                                       // 000000005094: 7E0A4105
	v_exp_f32_e32 v6, v6                                       // 000000005098: 7E0C4106
	v_exp_f32_e32 v7, v7                                       // 00000000509C: 7E0E4107
	v_add_f32_e64 v4, v4, 1.0                                  // 0000000050A0: D1010004 0001E504
	v_add_f32_e64 v5, v5, 1.0                                  // 0000000050A8: D1010005 0001E505
	v_add_f32_e64 v6, v6, 1.0                                  // 0000000050B0: D1010006 0001E506
	v_add_f32_e64 v7, v7, 1.0                                  // 0000000050B8: D1010007 0001E507
	v_rcp_f32_e32 v4, v4                                       // 0000000050C0: 7E084504
	v_rcp_f32_e32 v5, v5                                       // 0000000050C4: 7E0A4505
	v_rcp_f32_e32 v6, v6                                       // 0000000050C8: 7E0C4506
	v_rcp_f32_e32 v7, v7                                       // 0000000050CC: 7E0E4507
	v_mul_f32_e32 v116, v116, v4                               // 0000000050D0: 0AE80974
	v_mul_f32_e32 v117, v117, v5                               // 0000000050D4: 0AEA0B75
	v_mul_f32_e32 v118, v118, v6                               // 0000000050D8: 0AEC0D76
	v_mul_f32_e32 v119, v119, v7                               // 0000000050DC: 0AEE0F77
	v_mul_f32_e32 v116, v116, v156                             // 0000000050E0: 0AE93974
	v_mul_f32_e32 v117, v117, v157                             // 0000000050E4: 0AEB3B75
	v_mul_f32_e32 v118, v118, v158                             // 0000000050E8: 0AED3D76
	v_mul_f32_e32 v119, v119, v159                             // 0000000050EC: 0AEF3F77
	v_mul_f32_e64 v4, -v120, s6                                // 0000000050F0: D1050004 20000D78
	v_mul_f32_e64 v5, -v121, s6                                // 0000000050F8: D1050005 20000D79
	v_mul_f32_e64 v6, -v122, s6                                // 000000005100: D1050006 20000D7A
	v_mul_f32_e64 v7, -v123, s6                                // 000000005108: D1050007 20000D7B
	v_exp_f32_e32 v4, v4                                       // 000000005110: 7E084104
	v_exp_f32_e32 v5, v5                                       // 000000005114: 7E0A4105
	v_exp_f32_e32 v6, v6                                       // 000000005118: 7E0C4106
	v_exp_f32_e32 v7, v7                                       // 00000000511C: 7E0E4107
	v_add_f32_e64 v4, v4, 1.0                                  // 000000005120: D1010004 0001E504
	v_add_f32_e64 v5, v5, 1.0                                  // 000000005128: D1010005 0001E505
	v_add_f32_e64 v6, v6, 1.0                                  // 000000005130: D1010006 0001E506
	v_add_f32_e64 v7, v7, 1.0                                  // 000000005138: D1010007 0001E507
	v_rcp_f32_e32 v4, v4                                       // 000000005140: 7E084504
	v_rcp_f32_e32 v5, v5                                       // 000000005144: 7E0A4505
	v_rcp_f32_e32 v6, v6                                       // 000000005148: 7E0C4506
	v_rcp_f32_e32 v7, v7                                       // 00000000514C: 7E0E4507
	v_mul_f32_e32 v120, v120, v4                               // 000000005150: 0AF00978
	v_mul_f32_e32 v121, v121, v5                               // 000000005154: 0AF20B79
	v_mul_f32_e32 v122, v122, v6                               // 000000005158: 0AF40D7A
	v_mul_f32_e32 v123, v123, v7                               // 00000000515C: 0AF60F7B
	v_mul_f32_e32 v120, v120, v160                             // 000000005160: 0AF14178
	v_mul_f32_e32 v121, v121, v161                             // 000000005164: 0AF34379
	v_mul_f32_e32 v122, v122, v162                             // 000000005168: 0AF5457A
	v_mul_f32_e32 v123, v123, v163                             // 00000000516C: 0AF7477B
	v_mul_f32_e64 v4, -v124, s6                                // 000000005170: D1050004 20000D7C
	v_mul_f32_e64 v5, -v125, s6                                // 000000005178: D1050005 20000D7D
	v_mul_f32_e64 v6, -v126, s6                                // 000000005180: D1050006 20000D7E
	v_mul_f32_e64 v7, -v127, s6                                // 000000005188: D1050007 20000D7F
	v_exp_f32_e32 v4, v4                                       // 000000005190: 7E084104
	v_exp_f32_e32 v5, v5                                       // 000000005194: 7E0A4105
	v_exp_f32_e32 v6, v6                                       // 000000005198: 7E0C4106
	v_exp_f32_e32 v7, v7                                       // 00000000519C: 7E0E4107
	v_add_f32_e64 v4, v4, 1.0                                  // 0000000051A0: D1010004 0001E504
	v_add_f32_e64 v5, v5, 1.0                                  // 0000000051A8: D1010005 0001E505
	v_add_f32_e64 v6, v6, 1.0                                  // 0000000051B0: D1010006 0001E506
	v_add_f32_e64 v7, v7, 1.0                                  // 0000000051B8: D1010007 0001E507
	v_rcp_f32_e32 v4, v4                                       // 0000000051C0: 7E084504
	v_rcp_f32_e32 v5, v5                                       // 0000000051C4: 7E0A4505
	v_rcp_f32_e32 v6, v6                                       // 0000000051C8: 7E0C4506
	v_rcp_f32_e32 v7, v7                                       // 0000000051CC: 7E0E4507
	v_mul_f32_e32 v124, v124, v4                               // 0000000051D0: 0AF8097C
	v_mul_f32_e32 v125, v125, v5                               // 0000000051D4: 0AFA0B7D
	v_mul_f32_e32 v126, v126, v6                               // 0000000051D8: 0AFC0D7E
	v_mul_f32_e32 v127, v127, v7                               // 0000000051DC: 0AFE0F7F
	v_mul_f32_e32 v124, v124, v164                             // 0000000051E0: 0AF9497C
	v_mul_f32_e32 v125, v125, v165                             // 0000000051E4: 0AFB4B7D
	v_mul_f32_e32 v126, v126, v166                             // 0000000051E8: 0AFD4D7E
	v_mul_f32_e32 v127, v127, v167                             // 0000000051EC: 0AFF4F7F
	v_mul_f32_e64 v4, -v128, s6                                // 0000000051F0: D1050004 20000D80
	v_mul_f32_e64 v5, -v129, s6                                // 0000000051F8: D1050005 20000D81
	v_mul_f32_e64 v6, -v130, s6                                // 000000005200: D1050006 20000D82
	v_mul_f32_e64 v7, -v131, s6                                // 000000005208: D1050007 20000D83
	v_exp_f32_e32 v4, v4                                       // 000000005210: 7E084104
	v_exp_f32_e32 v5, v5                                       // 000000005214: 7E0A4105
	v_exp_f32_e32 v6, v6                                       // 000000005218: 7E0C4106
	v_exp_f32_e32 v7, v7                                       // 00000000521C: 7E0E4107
	v_add_f32_e64 v4, v4, 1.0                                  // 000000005220: D1010004 0001E504
	v_add_f32_e64 v5, v5, 1.0                                  // 000000005228: D1010005 0001E505
	v_add_f32_e64 v6, v6, 1.0                                  // 000000005230: D1010006 0001E506
	v_add_f32_e64 v7, v7, 1.0                                  // 000000005238: D1010007 0001E507
	v_rcp_f32_e32 v4, v4                                       // 000000005240: 7E084504
	v_rcp_f32_e32 v5, v5                                       // 000000005244: 7E0A4505
	v_rcp_f32_e32 v6, v6                                       // 000000005248: 7E0C4506
	v_rcp_f32_e32 v7, v7                                       // 00000000524C: 7E0E4507
	v_mul_f32_e32 v128, v128, v4                               // 000000005250: 0B000980
	v_mul_f32_e32 v129, v129, v5                               // 000000005254: 0B020B81
	v_mul_f32_e32 v130, v130, v6                               // 000000005258: 0B040D82
	v_mul_f32_e32 v131, v131, v7                               // 00000000525C: 0B060F83
	v_mul_f32_e32 v128, v128, v168                             // 000000005260: 0B015180
	v_mul_f32_e32 v129, v129, v169                             // 000000005264: 0B035381
	v_mul_f32_e32 v130, v130, v170                             // 000000005268: 0B055582
	v_mul_f32_e32 v131, v131, v171                             // 00000000526C: 0B075783

0000000000005270 <label_0A1C>:
	v_cmp_u_f32_e64 s[46:47], v92, v92                         // 000000005270: D048002E 0002B95C
	v_add3_u32 v16, v92, v19, 1                                // 000000005278: D1FF0010 0206275C
	v_cndmask_b32_e64 v4, v16, v18, s[46:47]                   // 000000005280: D1000004 00BA2510
	v_cmp_u_f32_e64 s[46:47], v93, v93                         // 000000005288: D048002E 0002BB5D
	v_add3_u32 v16, v93, v19, 1                                // 000000005290: D1FF0010 0206275D
	v_cndmask_b32_e64 v5, v16, v18, s[46:47]                   // 000000005298: D1000005 00BA2510
	v_perm_b32 v92, v5, v4, s52                                // 0000000052A0: D1ED005C 00D20905
	v_cmp_u_f32_e64 s[46:47], v94, v94                         // 0000000052A8: D048002E 0002BD5E
	v_add3_u32 v16, v94, v19, 1                                // 0000000052B0: D1FF0010 0206275E
	v_cndmask_b32_e64 v4, v16, v18, s[46:47]                   // 0000000052B8: D1000004 00BA2510
	v_cmp_u_f32_e64 s[46:47], v95, v95                         // 0000000052C0: D048002E 0002BF5F
	v_add3_u32 v16, v95, v19, 1                                // 0000000052C8: D1FF0010 0206275F
	v_cndmask_b32_e64 v5, v16, v18, s[46:47]                   // 0000000052D0: D1000005 00BA2510
	v_perm_b32 v93, v5, v4, s52                                // 0000000052D8: D1ED005D 00D20905
	v_cmp_u_f32_e64 s[46:47], v96, v96                         // 0000000052E0: D048002E 0002C160
	v_add3_u32 v16, v96, v19, 1                                // 0000000052E8: D1FF0010 02062760
	v_cndmask_b32_e64 v4, v16, v18, s[46:47]                   // 0000000052F0: D1000004 00BA2510
	v_cmp_u_f32_e64 s[46:47], v97, v97                         // 0000000052F8: D048002E 0002C361
	v_add3_u32 v16, v97, v19, 1                                // 000000005300: D1FF0010 02062761
	v_cndmask_b32_e64 v5, v16, v18, s[46:47]                   // 000000005308: D1000005 00BA2510
	v_perm_b32 v94, v5, v4, s52                                // 000000005310: D1ED005E 00D20905
	v_cmp_u_f32_e64 s[46:47], v98, v98                         // 000000005318: D048002E 0002C562
	v_add3_u32 v16, v98, v19, 1                                // 000000005320: D1FF0010 02062762
	v_cndmask_b32_e64 v4, v16, v18, s[46:47]                   // 000000005328: D1000004 00BA2510
	v_cmp_u_f32_e64 s[46:47], v99, v99                         // 000000005330: D048002E 0002C763
	v_add3_u32 v16, v99, v19, 1                                // 000000005338: D1FF0010 02062763
	v_cndmask_b32_e64 v5, v16, v18, s[46:47]                   // 000000005340: D1000005 00BA2510
	v_perm_b32 v95, v5, v4, s52                                // 000000005348: D1ED005F 00D20905
	v_cmp_u_f32_e64 s[46:47], v100, v100                       // 000000005350: D048002E 0002C964
	v_add3_u32 v16, v100, v19, 1                               // 000000005358: D1FF0010 02062764
	v_cndmask_b32_e64 v4, v16, v18, s[46:47]                   // 000000005360: D1000004 00BA2510
	v_cmp_u_f32_e64 s[46:47], v101, v101                       // 000000005368: D048002E 0002CB65
	v_add3_u32 v16, v101, v19, 1                               // 000000005370: D1FF0010 02062765
	v_cndmask_b32_e64 v5, v16, v18, s[46:47]                   // 000000005378: D1000005 00BA2510
	v_perm_b32 v96, v5, v4, s52                                // 000000005380: D1ED0060 00D20905
	v_cmp_u_f32_e64 s[46:47], v102, v102                       // 000000005388: D048002E 0002CD66
	v_add3_u32 v16, v102, v19, 1                               // 000000005390: D1FF0010 02062766
	v_cndmask_b32_e64 v4, v16, v18, s[46:47]                   // 000000005398: D1000004 00BA2510
	v_cmp_u_f32_e64 s[46:47], v103, v103                       // 0000000053A0: D048002E 0002CF67
	v_add3_u32 v16, v103, v19, 1                               // 0000000053A8: D1FF0010 02062767
	v_cndmask_b32_e64 v5, v16, v18, s[46:47]                   // 0000000053B0: D1000005 00BA2510
	v_perm_b32 v97, v5, v4, s52                                // 0000000053B8: D1ED0061 00D20905
	v_cmp_u_f32_e64 s[46:47], v104, v104                       // 0000000053C0: D048002E 0002D168
	v_add3_u32 v16, v104, v19, 1                               // 0000000053C8: D1FF0010 02062768
	v_cndmask_b32_e64 v4, v16, v18, s[46:47]                   // 0000000053D0: D1000004 00BA2510
	v_cmp_u_f32_e64 s[46:47], v105, v105                       // 0000000053D8: D048002E 0002D369
	v_add3_u32 v16, v105, v19, 1                               // 0000000053E0: D1FF0010 02062769
	v_cndmask_b32_e64 v5, v16, v18, s[46:47]                   // 0000000053E8: D1000005 00BA2510
	v_perm_b32 v98, v5, v4, s52                                // 0000000053F0: D1ED0062 00D20905
	v_cmp_u_f32_e64 s[46:47], v106, v106                       // 0000000053F8: D048002E 0002D56A
	v_add3_u32 v16, v106, v19, 1                               // 000000005400: D1FF0010 0206276A
	v_cndmask_b32_e64 v4, v16, v18, s[46:47]                   // 000000005408: D1000004 00BA2510
	v_cmp_u_f32_e64 s[46:47], v107, v107                       // 000000005410: D048002E 0002D76B
	v_add3_u32 v16, v107, v19, 1                               // 000000005418: D1FF0010 0206276B
	v_cndmask_b32_e64 v5, v16, v18, s[46:47]                   // 000000005420: D1000005 00BA2510
	v_perm_b32 v99, v5, v4, s52                                // 000000005428: D1ED0063 00D20905
	v_cmp_u_f32_e64 s[46:47], v108, v108                       // 000000005430: D048002E 0002D96C
	v_add3_u32 v16, v108, v19, 1                               // 000000005438: D1FF0010 0206276C
	v_cndmask_b32_e64 v4, v16, v18, s[46:47]                   // 000000005440: D1000004 00BA2510
	v_cmp_u_f32_e64 s[46:47], v109, v109                       // 000000005448: D048002E 0002DB6D
	v_add3_u32 v16, v109, v19, 1                               // 000000005450: D1FF0010 0206276D
	v_cndmask_b32_e64 v5, v16, v18, s[46:47]                   // 000000005458: D1000005 00BA2510
	v_perm_b32 v100, v5, v4, s52                               // 000000005460: D1ED0064 00D20905
	v_cmp_u_f32_e64 s[46:47], v110, v110                       // 000000005468: D048002E 0002DD6E
	v_add3_u32 v16, v110, v19, 1                               // 000000005470: D1FF0010 0206276E
	v_cndmask_b32_e64 v4, v16, v18, s[46:47]                   // 000000005478: D1000004 00BA2510
	v_cmp_u_f32_e64 s[46:47], v111, v111                       // 000000005480: D048002E 0002DF6F
	v_add3_u32 v16, v111, v19, 1                               // 000000005488: D1FF0010 0206276F
	v_cndmask_b32_e64 v5, v16, v18, s[46:47]                   // 000000005490: D1000005 00BA2510
	v_perm_b32 v101, v5, v4, s52                               // 000000005498: D1ED0065 00D20905
	v_cmp_u_f32_e64 s[46:47], v112, v112                       // 0000000054A0: D048002E 0002E170
	v_add3_u32 v16, v112, v19, 1                               // 0000000054A8: D1FF0010 02062770
	v_cndmask_b32_e64 v4, v16, v18, s[46:47]                   // 0000000054B0: D1000004 00BA2510
	v_cmp_u_f32_e64 s[46:47], v113, v113                       // 0000000054B8: D048002E 0002E371
	v_add3_u32 v16, v113, v19, 1                               // 0000000054C0: D1FF0010 02062771
	v_cndmask_b32_e64 v5, v16, v18, s[46:47]                   // 0000000054C8: D1000005 00BA2510
	v_perm_b32 v102, v5, v4, s52                               // 0000000054D0: D1ED0066 00D20905
	v_cmp_u_f32_e64 s[46:47], v114, v114                       // 0000000054D8: D048002E 0002E572
	v_add3_u32 v16, v114, v19, 1                               // 0000000054E0: D1FF0010 02062772
	v_cndmask_b32_e64 v4, v16, v18, s[46:47]                   // 0000000054E8: D1000004 00BA2510
	v_cmp_u_f32_e64 s[46:47], v115, v115                       // 0000000054F0: D048002E 0002E773
	v_add3_u32 v16, v115, v19, 1                               // 0000000054F8: D1FF0010 02062773
	v_cndmask_b32_e64 v5, v16, v18, s[46:47]                   // 000000005500: D1000005 00BA2510
	v_perm_b32 v103, v5, v4, s52                               // 000000005508: D1ED0067 00D20905
	v_cmp_u_f32_e64 s[46:47], v116, v116                       // 000000005510: D048002E 0002E974
	v_add3_u32 v16, v116, v19, 1                               // 000000005518: D1FF0010 02062774
	v_cndmask_b32_e64 v4, v16, v18, s[46:47]                   // 000000005520: D1000004 00BA2510
	v_cmp_u_f32_e64 s[46:47], v117, v117                       // 000000005528: D048002E 0002EB75
	v_add3_u32 v16, v117, v19, 1                               // 000000005530: D1FF0010 02062775
	v_cndmask_b32_e64 v5, v16, v18, s[46:47]                   // 000000005538: D1000005 00BA2510
	v_perm_b32 v104, v5, v4, s52                               // 000000005540: D1ED0068 00D20905
	v_cmp_u_f32_e64 s[46:47], v118, v118                       // 000000005548: D048002E 0002ED76
	v_add3_u32 v16, v118, v19, 1                               // 000000005550: D1FF0010 02062776
	v_cndmask_b32_e64 v4, v16, v18, s[46:47]                   // 000000005558: D1000004 00BA2510
	v_cmp_u_f32_e64 s[46:47], v119, v119                       // 000000005560: D048002E 0002EF77
	v_add3_u32 v16, v119, v19, 1                               // 000000005568: D1FF0010 02062777
	v_cndmask_b32_e64 v5, v16, v18, s[46:47]                   // 000000005570: D1000005 00BA2510
	v_perm_b32 v105, v5, v4, s52                               // 000000005578: D1ED0069 00D20905
	v_cmp_u_f32_e64 s[46:47], v120, v120                       // 000000005580: D048002E 0002F178
	v_add3_u32 v16, v120, v19, 1                               // 000000005588: D1FF0010 02062778
	v_cndmask_b32_e64 v4, v16, v18, s[46:47]                   // 000000005590: D1000004 00BA2510
	v_cmp_u_f32_e64 s[46:47], v121, v121                       // 000000005598: D048002E 0002F379
	v_add3_u32 v16, v121, v19, 1                               // 0000000055A0: D1FF0010 02062779
	v_cndmask_b32_e64 v5, v16, v18, s[46:47]                   // 0000000055A8: D1000005 00BA2510
	v_perm_b32 v106, v5, v4, s52                               // 0000000055B0: D1ED006A 00D20905
	v_cmp_u_f32_e64 s[46:47], v122, v122                       // 0000000055B8: D048002E 0002F57A
	v_add3_u32 v16, v122, v19, 1                               // 0000000055C0: D1FF0010 0206277A
	v_cndmask_b32_e64 v4, v16, v18, s[46:47]                   // 0000000055C8: D1000004 00BA2510
	v_cmp_u_f32_e64 s[46:47], v123, v123                       // 0000000055D0: D048002E 0002F77B
	v_add3_u32 v16, v123, v19, 1                               // 0000000055D8: D1FF0010 0206277B
	v_cndmask_b32_e64 v5, v16, v18, s[46:47]                   // 0000000055E0: D1000005 00BA2510
	v_perm_b32 v107, v5, v4, s52                               // 0000000055E8: D1ED006B 00D20905
	v_cmp_u_f32_e64 s[46:47], v124, v124                       // 0000000055F0: D048002E 0002F97C
	v_add3_u32 v16, v124, v19, 1                               // 0000000055F8: D1FF0010 0206277C
	v_cndmask_b32_e64 v4, v16, v18, s[46:47]                   // 000000005600: D1000004 00BA2510
	v_cmp_u_f32_e64 s[46:47], v125, v125                       // 000000005608: D048002E 0002FB7D
	v_add3_u32 v16, v125, v19, 1                               // 000000005610: D1FF0010 0206277D
	v_cndmask_b32_e64 v5, v16, v18, s[46:47]                   // 000000005618: D1000005 00BA2510
	v_perm_b32 v108, v5, v4, s52                               // 000000005620: D1ED006C 00D20905
	v_cmp_u_f32_e64 s[46:47], v126, v126                       // 000000005628: D048002E 0002FD7E
	v_add3_u32 v16, v126, v19, 1                               // 000000005630: D1FF0010 0206277E
	v_cndmask_b32_e64 v4, v16, v18, s[46:47]                   // 000000005638: D1000004 00BA2510
	v_cmp_u_f32_e64 s[46:47], v127, v127                       // 000000005640: D048002E 0002FF7F
	v_add3_u32 v16, v127, v19, 1                               // 000000005648: D1FF0010 0206277F
	v_cndmask_b32_e64 v5, v16, v18, s[46:47]                   // 000000005650: D1000005 00BA2510
	v_perm_b32 v109, v5, v4, s52                               // 000000005658: D1ED006D 00D20905
	v_cmp_u_f32_e64 s[46:47], v128, v128                       // 000000005660: D048002E 00030180
	v_add3_u32 v16, v128, v19, 1                               // 000000005668: D1FF0010 02062780
	v_cndmask_b32_e64 v4, v16, v18, s[46:47]                   // 000000005670: D1000004 00BA2510
	v_cmp_u_f32_e64 s[46:47], v129, v129                       // 000000005678: D048002E 00030381
	v_add3_u32 v16, v129, v19, 1                               // 000000005680: D1FF0010 02062781
	v_cndmask_b32_e64 v5, v16, v18, s[46:47]                   // 000000005688: D1000005 00BA2510
	v_perm_b32 v110, v5, v4, s52                               // 000000005690: D1ED006E 00D20905
	v_cmp_u_f32_e64 s[46:47], v130, v130                       // 000000005698: D048002E 00030582
	v_add3_u32 v16, v130, v19, 1                               // 0000000056A0: D1FF0010 02062782
	v_cndmask_b32_e64 v4, v16, v18, s[46:47]                   // 0000000056A8: D1000004 00BA2510
	v_cmp_u_f32_e64 s[46:47], v131, v131                       // 0000000056B0: D048002E 00030783
	v_add3_u32 v16, v131, v19, 1                               // 0000000056B8: D1FF0010 02062783
	v_cndmask_b32_e64 v5, v16, v18, s[46:47]                   // 0000000056C0: D1000005 00BA2510
	v_perm_b32 v111, v5, v4, s52                               // 0000000056C8: D1ED006F 00D20905
	ds_write_b64 v20, v[92:93]                                 // 0000000056D0: D89A0000 00005C14
	ds_write_b64 v20, v[94:95] offset:2176                     // 0000000056D8: D89A0880 00005E14
	ds_write_b64 v20, v[96:97] offset:4352                     // 0000000056E0: D89A1100 00006014
	ds_write_b64 v20, v[98:99] offset:6528                     // 0000000056E8: D89A1980 00006214
	ds_write_b64 v20, v[100:101] offset:8704                   // 0000000056F0: D89A2200 00006414
	ds_write_b64 v20, v[102:103] offset:10880                  // 0000000056F8: D89A2A80 00006614
	ds_write_b64 v20, v[104:105] offset:13056                  // 000000005700: D89A3300 00006814
	ds_write_b64 v20, v[106:107] offset:15232                  // 000000005708: D89A3B80 00006A14
	ds_write_b64 v20, v[108:109] offset:17408                  // 000000005710: D89A4400 00006C14
	ds_write_b64 v20, v[110:111] offset:19584                  // 000000005718: D89A4C80 00006E14
	v_lshrrev_b32_e32 v4, 5, v0                                // 000000005720: 20080085
	v_xor_b32_e32 v5, 1, v4                                    // 000000005724: 2A0A0881
	s_mul_i32 s60, s65, 2                                      // 000000005728: 923C8241
	s_cmp_eq_u32 s88, 0                                        // 00000000572C: BF068058
	s_cselect_b32 s61, 1, 4                                    // 000000005730: 853D8481
	s_mul_i32 s60, s61, s60                                    // 000000005734: 923C3C3D
	v_readlane_b32 s82, v3, 0                                  // 000000005738: D2890052 00010103
	s_lshr_b32 s61, s82, 24                                    // 000000005740: 8F3D9852
	s_and_b32 s82, s82, 0xffffff                               // 000000005744: 8652FF52 00FFFFFF
	s_mul_i32 s82, s82, s71                                    // 00000000574C: 92524752
	s_mul_i32 s61, s60, s61                                    // 000000005750: 923D3D3C
	s_add_u32 s82, s82, s61                                    // 000000005754: 80523D52
	v_mul_lo_u32 v6, v5, s82                                   // 000000005758: D2850006 0000A505
	v_readlane_b32 s82, v3, 1                                  // 000000005760: D2890052 00010303
	s_lshr_b32 s61, s82, 24                                    // 000000005768: 8F3D9852
	s_and_b32 s82, s82, 0xffffff                               // 00000000576C: 8652FF52 00FFFFFF
	s_mul_i32 s82, s82, s71                                    // 000000005774: 92524752
	s_mul_i32 s61, s60, s61                                    // 000000005778: 923D3D3C
	s_add_u32 s82, s82, s61                                    // 00000000577C: 80523D52
	v_mul_lo_u32 v7, v4, s82                                   // 000000005780: D2850007 0000A504
	v_add_u32_e32 v68, v6, v7                                  // 000000005788: 68880F06
	v_readlane_b32 s82, v3, 2                                  // 00000000578C: D2890052 00010503
	s_lshr_b32 s61, s82, 24                                    // 000000005794: 8F3D9852
	s_and_b32 s82, s82, 0xffffff                               // 000000005798: 8652FF52 00FFFFFF
	s_mul_i32 s82, s82, s71                                    // 0000000057A0: 92524752
	s_mul_i32 s61, s60, s61                                    // 0000000057A4: 923D3D3C
	s_add_u32 s82, s82, s61                                    // 0000000057A8: 80523D52
	v_mul_lo_u32 v6, v5, s82                                   // 0000000057AC: D2850006 0000A505
	v_readlane_b32 s82, v3, 3                                  // 0000000057B4: D2890052 00010703
	s_lshr_b32 s61, s82, 24                                    // 0000000057BC: 8F3D9852
	s_and_b32 s82, s82, 0xffffff                               // 0000000057C0: 8652FF52 00FFFFFF
	s_mul_i32 s82, s82, s71                                    // 0000000057C8: 92524752
	s_mul_i32 s61, s60, s61                                    // 0000000057CC: 923D3D3C
	s_add_u32 s82, s82, s61                                    // 0000000057D0: 80523D52
	v_mul_lo_u32 v7, v4, s82                                   // 0000000057D4: D2850007 0000A504
	v_add_u32_e32 v69, v6, v7                                  // 0000000057DC: 688A0F06
	v_readlane_b32 s82, v3, 4                                  // 0000000057E0: D2890052 00010903
	s_lshr_b32 s61, s82, 24                                    // 0000000057E8: 8F3D9852
	s_and_b32 s82, s82, 0xffffff                               // 0000000057EC: 8652FF52 00FFFFFF
	s_mul_i32 s82, s82, s71                                    // 0000000057F4: 92524752
	s_mul_i32 s61, s60, s61                                    // 0000000057F8: 923D3D3C
	s_add_u32 s82, s82, s61                                    // 0000000057FC: 80523D52
	v_mul_lo_u32 v6, v5, s82                                   // 000000005800: D2850006 0000A505
	v_readlane_b32 s82, v3, 5                                  // 000000005808: D2890052 00010B03
	s_lshr_b32 s61, s82, 24                                    // 000000005810: 8F3D9852
	s_and_b32 s82, s82, 0xffffff                               // 000000005814: 8652FF52 00FFFFFF
	s_mul_i32 s82, s82, s71                                    // 00000000581C: 92524752
	s_mul_i32 s61, s60, s61                                    // 000000005820: 923D3D3C
	s_add_u32 s82, s82, s61                                    // 000000005824: 80523D52
	v_mul_lo_u32 v7, v4, s82                                   // 000000005828: D2850007 0000A504
	v_add_u32_e32 v70, v6, v7                                  // 000000005830: 688C0F06
	v_readlane_b32 s82, v3, 6                                  // 000000005834: D2890052 00010D03
	s_lshr_b32 s61, s82, 24                                    // 00000000583C: 8F3D9852
	s_and_b32 s82, s82, 0xffffff                               // 000000005840: 8652FF52 00FFFFFF
	s_mul_i32 s82, s82, s71                                    // 000000005848: 92524752
	s_mul_i32 s61, s60, s61                                    // 00000000584C: 923D3D3C
	s_add_u32 s82, s82, s61                                    // 000000005850: 80523D52
	v_mul_lo_u32 v6, v5, s82                                   // 000000005854: D2850006 0000A505
	v_readlane_b32 s82, v3, 7                                  // 00000000585C: D2890052 00010F03
	s_lshr_b32 s61, s82, 24                                    // 000000005864: 8F3D9852
	s_and_b32 s82, s82, 0xffffff                               // 000000005868: 8652FF52 00FFFFFF
	s_mul_i32 s82, s82, s71                                    // 000000005870: 92524752
	s_mul_i32 s61, s60, s61                                    // 000000005874: 923D3D3C
	s_add_u32 s82, s82, s61                                    // 000000005878: 80523D52
	v_mul_lo_u32 v7, v4, s82                                   // 00000000587C: D2850007 0000A504
	v_add_u32_e32 v71, v6, v7                                  // 000000005884: 688E0F06
	v_readlane_b32 s82, v3, 8                                  // 000000005888: D2890052 00011103
	s_lshr_b32 s61, s82, 24                                    // 000000005890: 8F3D9852
	s_and_b32 s82, s82, 0xffffff                               // 000000005894: 8652FF52 00FFFFFF
	s_mul_i32 s82, s82, s71                                    // 00000000589C: 92524752
	s_mul_i32 s61, s60, s61                                    // 0000000058A0: 923D3D3C
	s_add_u32 s82, s82, s61                                    // 0000000058A4: 80523D52
	v_mul_lo_u32 v6, v5, s82                                   // 0000000058A8: D2850006 0000A505
	v_readlane_b32 s82, v3, 9                                  // 0000000058B0: D2890052 00011303
	s_lshr_b32 s61, s82, 24                                    // 0000000058B8: 8F3D9852
	s_and_b32 s82, s82, 0xffffff                               // 0000000058BC: 8652FF52 00FFFFFF
	s_mul_i32 s82, s82, s71                                    // 0000000058C4: 92524752
	s_mul_i32 s61, s60, s61                                    // 0000000058C8: 923D3D3C
	s_add_u32 s82, s82, s61                                    // 0000000058CC: 80523D52
	v_mul_lo_u32 v7, v4, s82                                   // 0000000058D0: D2850007 0000A504
	v_add_u32_e32 v72, v6, v7                                  // 0000000058D8: 68900F06
	v_readlane_b32 s82, v3, 10                                 // 0000000058DC: D2890052 00011503
	s_lshr_b32 s61, s82, 24                                    // 0000000058E4: 8F3D9852
	s_and_b32 s82, s82, 0xffffff                               // 0000000058E8: 8652FF52 00FFFFFF
	s_mul_i32 s82, s82, s71                                    // 0000000058F0: 92524752
	s_mul_i32 s61, s60, s61                                    // 0000000058F4: 923D3D3C
	s_add_u32 s82, s82, s61                                    // 0000000058F8: 80523D52
	v_mul_lo_u32 v6, v5, s82                                   // 0000000058FC: D2850006 0000A505
	v_readlane_b32 s82, v3, 11                                 // 000000005904: D2890052 00011703
	s_lshr_b32 s61, s82, 24                                    // 00000000590C: 8F3D9852
	s_and_b32 s82, s82, 0xffffff                               // 000000005910: 8652FF52 00FFFFFF
	s_mul_i32 s82, s82, s71                                    // 000000005918: 92524752
	s_mul_i32 s61, s60, s61                                    // 00000000591C: 923D3D3C
	s_add_u32 s82, s82, s61                                    // 000000005920: 80523D52
	v_mul_lo_u32 v7, v4, s82                                   // 000000005924: D2850007 0000A504
	v_add_u32_e32 v73, v6, v7                                  // 00000000592C: 68920F06
	v_readlane_b32 s82, v3, 12                                 // 000000005930: D2890052 00011903
	s_lshr_b32 s61, s82, 24                                    // 000000005938: 8F3D9852
	s_and_b32 s82, s82, 0xffffff                               // 00000000593C: 8652FF52 00FFFFFF
	s_mul_i32 s82, s82, s71                                    // 000000005944: 92524752
	s_mul_i32 s61, s60, s61                                    // 000000005948: 923D3D3C
	s_add_u32 s82, s82, s61                                    // 00000000594C: 80523D52
	v_mul_lo_u32 v6, v5, s82                                   // 000000005950: D2850006 0000A505
	v_readlane_b32 s82, v3, 13                                 // 000000005958: D2890052 00011B03
	s_lshr_b32 s61, s82, 24                                    // 000000005960: 8F3D9852
	s_and_b32 s82, s82, 0xffffff                               // 000000005964: 8652FF52 00FFFFFF
	s_mul_i32 s82, s82, s71                                    // 00000000596C: 92524752
	s_mul_i32 s61, s60, s61                                    // 000000005970: 923D3D3C
	s_add_u32 s82, s82, s61                                    // 000000005974: 80523D52
	v_mul_lo_u32 v7, v4, s82                                   // 000000005978: D2850007 0000A504
	v_add_u32_e32 v74, v6, v7                                  // 000000005980: 68940F06
	v_readlane_b32 s82, v3, 14                                 // 000000005984: D2890052 00011D03
	s_lshr_b32 s61, s82, 24                                    // 00000000598C: 8F3D9852
	s_and_b32 s82, s82, 0xffffff                               // 000000005990: 8652FF52 00FFFFFF
	s_mul_i32 s82, s82, s71                                    // 000000005998: 92524752
	s_mul_i32 s61, s60, s61                                    // 00000000599C: 923D3D3C
	s_add_u32 s82, s82, s61                                    // 0000000059A0: 80523D52
	v_mul_lo_u32 v6, v5, s82                                   // 0000000059A4: D2850006 0000A505
	v_readlane_b32 s82, v3, 15                                 // 0000000059AC: D2890052 00011F03
	s_lshr_b32 s61, s82, 24                                    // 0000000059B4: 8F3D9852
	s_and_b32 s82, s82, 0xffffff                               // 0000000059B8: 8652FF52 00FFFFFF
	s_mul_i32 s82, s82, s71                                    // 0000000059C0: 92524752
	s_mul_i32 s61, s60, s61                                    // 0000000059C4: 923D3D3C
	s_add_u32 s82, s82, s61                                    // 0000000059C8: 80523D52
	v_mul_lo_u32 v7, v4, s82                                   // 0000000059CC: D2850007 0000A504
	v_add_u32_e32 v75, v6, v7                                  // 0000000059D4: 68960F06
	v_readlane_b32 s82, v3, 16                                 // 0000000059D8: D2890052 00012103
	s_lshr_b32 s61, s82, 24                                    // 0000000059E0: 8F3D9852
	s_and_b32 s82, s82, 0xffffff                               // 0000000059E4: 8652FF52 00FFFFFF
	s_mul_i32 s82, s82, s71                                    // 0000000059EC: 92524752
	s_mul_i32 s61, s60, s61                                    // 0000000059F0: 923D3D3C
	s_add_u32 s82, s82, s61                                    // 0000000059F4: 80523D52
	v_mul_lo_u32 v6, v5, s82                                   // 0000000059F8: D2850006 0000A505
	v_readlane_b32 s82, v3, 17                                 // 000000005A00: D2890052 00012303
	s_lshr_b32 s61, s82, 24                                    // 000000005A08: 8F3D9852
	s_and_b32 s82, s82, 0xffffff                               // 000000005A0C: 8652FF52 00FFFFFF
	s_mul_i32 s82, s82, s71                                    // 000000005A14: 92524752
	s_mul_i32 s61, s60, s61                                    // 000000005A18: 923D3D3C
	s_add_u32 s82, s82, s61                                    // 000000005A1C: 80523D52
	v_mul_lo_u32 v7, v4, s82                                   // 000000005A20: D2850007 0000A504
	v_add_u32_e32 v76, v6, v7                                  // 000000005A28: 68980F06
	v_readlane_b32 s82, v3, 18                                 // 000000005A2C: D2890052 00012503
	s_lshr_b32 s61, s82, 24                                    // 000000005A34: 8F3D9852
	s_and_b32 s82, s82, 0xffffff                               // 000000005A38: 8652FF52 00FFFFFF
	s_mul_i32 s82, s82, s71                                    // 000000005A40: 92524752
	s_mul_i32 s61, s60, s61                                    // 000000005A44: 923D3D3C
	s_add_u32 s82, s82, s61                                    // 000000005A48: 80523D52
	v_mul_lo_u32 v6, v5, s82                                   // 000000005A4C: D2850006 0000A505
	v_readlane_b32 s82, v3, 19                                 // 000000005A54: D2890052 00012703
	s_lshr_b32 s61, s82, 24                                    // 000000005A5C: 8F3D9852
	s_and_b32 s82, s82, 0xffffff                               // 000000005A60: 8652FF52 00FFFFFF
	s_mul_i32 s82, s82, s71                                    // 000000005A68: 92524752
	s_mul_i32 s61, s60, s61                                    // 000000005A6C: 923D3D3C
	s_add_u32 s82, s82, s61                                    // 000000005A70: 80523D52
	v_mul_lo_u32 v7, v4, s82                                   // 000000005A74: D2850007 0000A504
	v_add_u32_e32 v77, v6, v7                                  // 000000005A7C: 689A0F06
	v_readlane_b32 s82, v3, 20                                 // 000000005A80: D2890052 00012903
	s_lshr_b32 s61, s82, 24                                    // 000000005A88: 8F3D9852
	s_and_b32 s82, s82, 0xffffff                               // 000000005A8C: 8652FF52 00FFFFFF
	s_mul_i32 s82, s82, s71                                    // 000000005A94: 92524752
	s_mul_i32 s61, s60, s61                                    // 000000005A98: 923D3D3C
	s_add_u32 s82, s82, s61                                    // 000000005A9C: 80523D52
	v_mul_lo_u32 v6, v5, s82                                   // 000000005AA0: D2850006 0000A505
	v_readlane_b32 s82, v3, 21                                 // 000000005AA8: D2890052 00012B03
	s_lshr_b32 s61, s82, 24                                    // 000000005AB0: 8F3D9852
	s_and_b32 s82, s82, 0xffffff                               // 000000005AB4: 8652FF52 00FFFFFF
	s_mul_i32 s82, s82, s71                                    // 000000005ABC: 92524752
	s_mul_i32 s61, s60, s61                                    // 000000005AC0: 923D3D3C
	s_add_u32 s82, s82, s61                                    // 000000005AC4: 80523D52
	v_mul_lo_u32 v7, v4, s82                                   // 000000005AC8: D2850007 0000A504
	v_add_u32_e32 v78, v6, v7                                  // 000000005AD0: 689C0F06
	v_readlane_b32 s82, v3, 22                                 // 000000005AD4: D2890052 00012D03
	s_lshr_b32 s61, s82, 24                                    // 000000005ADC: 8F3D9852
	s_and_b32 s82, s82, 0xffffff                               // 000000005AE0: 8652FF52 00FFFFFF
	s_mul_i32 s82, s82, s71                                    // 000000005AE8: 92524752
	s_mul_i32 s61, s60, s61                                    // 000000005AEC: 923D3D3C
	s_add_u32 s82, s82, s61                                    // 000000005AF0: 80523D52
	v_mul_lo_u32 v6, v5, s82                                   // 000000005AF4: D2850006 0000A505
	v_readlane_b32 s82, v3, 23                                 // 000000005AFC: D2890052 00012F03
	s_lshr_b32 s61, s82, 24                                    // 000000005B04: 8F3D9852
	s_and_b32 s82, s82, 0xffffff                               // 000000005B08: 8652FF52 00FFFFFF
	s_mul_i32 s82, s82, s71                                    // 000000005B10: 92524752
	s_mul_i32 s61, s60, s61                                    // 000000005B14: 923D3D3C
	s_add_u32 s82, s82, s61                                    // 000000005B18: 80523D52
	v_mul_lo_u32 v7, v4, s82                                   // 000000005B1C: D2850007 0000A504
	v_add_u32_e32 v79, v6, v7                                  // 000000005B24: 689E0F06
	v_readlane_b32 s82, v3, 24                                 // 000000005B28: D2890052 00013103
	s_lshr_b32 s61, s82, 24                                    // 000000005B30: 8F3D9852
	s_and_b32 s82, s82, 0xffffff                               // 000000005B34: 8652FF52 00FFFFFF
	s_mul_i32 s82, s82, s71                                    // 000000005B3C: 92524752
	s_mul_i32 s61, s60, s61                                    // 000000005B40: 923D3D3C
	s_add_u32 s82, s82, s61                                    // 000000005B44: 80523D52
	v_mul_lo_u32 v6, v5, s82                                   // 000000005B48: D2850006 0000A505
	v_readlane_b32 s82, v3, 25                                 // 000000005B50: D2890052 00013303
	s_lshr_b32 s61, s82, 24                                    // 000000005B58: 8F3D9852
	s_and_b32 s82, s82, 0xffffff                               // 000000005B5C: 8652FF52 00FFFFFF
	s_mul_i32 s82, s82, s71                                    // 000000005B64: 92524752
	s_mul_i32 s61, s60, s61                                    // 000000005B68: 923D3D3C
	s_add_u32 s82, s82, s61                                    // 000000005B6C: 80523D52
	v_mul_lo_u32 v7, v4, s82                                   // 000000005B70: D2850007 0000A504
	v_add_u32_e32 v80, v6, v7                                  // 000000005B78: 68A00F06
	v_readlane_b32 s82, v3, 26                                 // 000000005B7C: D2890052 00013503
	s_lshr_b32 s61, s82, 24                                    // 000000005B84: 8F3D9852
	s_and_b32 s82, s82, 0xffffff                               // 000000005B88: 8652FF52 00FFFFFF
	s_mul_i32 s82, s82, s71                                    // 000000005B90: 92524752
	s_mul_i32 s61, s60, s61                                    // 000000005B94: 923D3D3C
	s_add_u32 s82, s82, s61                                    // 000000005B98: 80523D52
	v_mul_lo_u32 v6, v5, s82                                   // 000000005B9C: D2850006 0000A505
	v_readlane_b32 s82, v3, 27                                 // 000000005BA4: D2890052 00013703
	s_lshr_b32 s61, s82, 24                                    // 000000005BAC: 8F3D9852
	s_and_b32 s82, s82, 0xffffff                               // 000000005BB0: 8652FF52 00FFFFFF
	s_mul_i32 s82, s82, s71                                    // 000000005BB8: 92524752
	s_mul_i32 s61, s60, s61                                    // 000000005BBC: 923D3D3C
	s_add_u32 s82, s82, s61                                    // 000000005BC0: 80523D52
	v_mul_lo_u32 v7, v4, s82                                   // 000000005BC4: D2850007 0000A504
	v_add_u32_e32 v81, v6, v7                                  // 000000005BCC: 68A20F06
	v_readlane_b32 s82, v3, 28                                 // 000000005BD0: D2890052 00013903
	s_lshr_b32 s61, s82, 24                                    // 000000005BD8: 8F3D9852
	s_and_b32 s82, s82, 0xffffff                               // 000000005BDC: 8652FF52 00FFFFFF
	s_mul_i32 s82, s82, s71                                    // 000000005BE4: 92524752
	s_mul_i32 s61, s60, s61                                    // 000000005BE8: 923D3D3C
	s_add_u32 s82, s82, s61                                    // 000000005BEC: 80523D52
	v_mul_lo_u32 v6, v5, s82                                   // 000000005BF0: D2850006 0000A505
	v_readlane_b32 s82, v3, 29                                 // 000000005BF8: D2890052 00013B03
	s_lshr_b32 s61, s82, 24                                    // 000000005C00: 8F3D9852
	s_and_b32 s82, s82, 0xffffff                               // 000000005C04: 8652FF52 00FFFFFF
	s_mul_i32 s82, s82, s71                                    // 000000005C0C: 92524752
	s_mul_i32 s61, s60, s61                                    // 000000005C10: 923D3D3C
	s_add_u32 s82, s82, s61                                    // 000000005C14: 80523D52
	v_mul_lo_u32 v7, v4, s82                                   // 000000005C18: D2850007 0000A504
	v_add_u32_e32 v82, v6, v7                                  // 000000005C20: 68A40F06
	v_readlane_b32 s82, v3, 30                                 // 000000005C24: D2890052 00013D03
	s_lshr_b32 s61, s82, 24                                    // 000000005C2C: 8F3D9852
	s_and_b32 s82, s82, 0xffffff                               // 000000005C30: 8652FF52 00FFFFFF
	s_mul_i32 s82, s82, s71                                    // 000000005C38: 92524752
	s_mul_i32 s61, s60, s61                                    // 000000005C3C: 923D3D3C
	s_add_u32 s82, s82, s61                                    // 000000005C40: 80523D52
	v_mul_lo_u32 v6, v5, s82                                   // 000000005C44: D2850006 0000A505
	v_readlane_b32 s82, v3, 31                                 // 000000005C4C: D2890052 00013F03
	s_lshr_b32 s61, s82, 24                                    // 000000005C54: 8F3D9852
	s_and_b32 s82, s82, 0xffffff                               // 000000005C58: 8652FF52 00FFFFFF
	s_mul_i32 s82, s82, s71                                    // 000000005C60: 92524752
	s_mul_i32 s61, s60, s61                                    // 000000005C64: 923D3D3C
	s_add_u32 s82, s82, s61                                    // 000000005C68: 80523D52
	v_mul_lo_u32 v7, v4, s82                                   // 000000005C6C: D2850007 0000A504
	v_add_u32_e32 v83, v6, v7                                  // 000000005C74: 68A60F06
	v_readlane_b32 s82, v3, 32                                 // 000000005C78: D2890052 00014103
	s_lshr_b32 s61, s82, 24                                    // 000000005C80: 8F3D9852
	s_and_b32 s82, s82, 0xffffff                               // 000000005C84: 8652FF52 00FFFFFF
	s_mul_i32 s82, s82, s71                                    // 000000005C8C: 92524752
	s_mul_i32 s61, s60, s61                                    // 000000005C90: 923D3D3C
	s_add_u32 s82, s82, s61                                    // 000000005C94: 80523D52
	v_mul_lo_u32 v6, v5, s82                                   // 000000005C98: D2850006 0000A505
	v_readlane_b32 s82, v3, 33                                 // 000000005CA0: D2890052 00014303
	s_lshr_b32 s61, s82, 24                                    // 000000005CA8: 8F3D9852
	s_and_b32 s82, s82, 0xffffff                               // 000000005CAC: 8652FF52 00FFFFFF
	s_mul_i32 s82, s82, s71                                    // 000000005CB4: 92524752
	s_mul_i32 s61, s60, s61                                    // 000000005CB8: 923D3D3C
	s_add_u32 s82, s82, s61                                    // 000000005CBC: 80523D52
	v_mul_lo_u32 v7, v4, s82                                   // 000000005CC0: D2850007 0000A504
	v_add_u32_e32 v84, v6, v7                                  // 000000005CC8: 68A80F06
	v_readlane_b32 s82, v3, 34                                 // 000000005CCC: D2890052 00014503
	s_lshr_b32 s61, s82, 24                                    // 000000005CD4: 8F3D9852
	s_and_b32 s82, s82, 0xffffff                               // 000000005CD8: 8652FF52 00FFFFFF
	s_mul_i32 s82, s82, s71                                    // 000000005CE0: 92524752
	s_mul_i32 s61, s60, s61                                    // 000000005CE4: 923D3D3C
	s_add_u32 s82, s82, s61                                    // 000000005CE8: 80523D52
	v_mul_lo_u32 v6, v5, s82                                   // 000000005CEC: D2850006 0000A505
	v_readlane_b32 s82, v3, 35                                 // 000000005CF4: D2890052 00014703
	s_lshr_b32 s61, s82, 24                                    // 000000005CFC: 8F3D9852
	s_and_b32 s82, s82, 0xffffff                               // 000000005D00: 8652FF52 00FFFFFF
	s_mul_i32 s82, s82, s71                                    // 000000005D08: 92524752
	s_mul_i32 s61, s60, s61                                    // 000000005D0C: 923D3D3C
	s_add_u32 s82, s82, s61                                    // 000000005D10: 80523D52
	v_mul_lo_u32 v7, v4, s82                                   // 000000005D14: D2850007 0000A504
	v_add_u32_e32 v85, v6, v7                                  // 000000005D1C: 68AA0F06
	v_readlane_b32 s82, v3, 36                                 // 000000005D20: D2890052 00014903
	s_lshr_b32 s61, s82, 24                                    // 000000005D28: 8F3D9852
	s_and_b32 s82, s82, 0xffffff                               // 000000005D2C: 8652FF52 00FFFFFF
	s_mul_i32 s82, s82, s71                                    // 000000005D34: 92524752
	s_mul_i32 s61, s60, s61                                    // 000000005D38: 923D3D3C
	s_add_u32 s82, s82, s61                                    // 000000005D3C: 80523D52
	v_mul_lo_u32 v6, v5, s82                                   // 000000005D40: D2850006 0000A505
	v_readlane_b32 s82, v3, 37                                 // 000000005D48: D2890052 00014B03
	s_lshr_b32 s61, s82, 24                                    // 000000005D50: 8F3D9852
	s_and_b32 s82, s82, 0xffffff                               // 000000005D54: 8652FF52 00FFFFFF
	s_mul_i32 s82, s82, s71                                    // 000000005D5C: 92524752
	s_mul_i32 s61, s60, s61                                    // 000000005D60: 923D3D3C
	s_add_u32 s82, s82, s61                                    // 000000005D64: 80523D52
	v_mul_lo_u32 v7, v4, s82                                   // 000000005D68: D2850007 0000A504
	v_add_u32_e32 v86, v6, v7                                  // 000000005D70: 68AC0F06
	v_readlane_b32 s82, v3, 38                                 // 000000005D74: D2890052 00014D03
	s_lshr_b32 s61, s82, 24                                    // 000000005D7C: 8F3D9852
	s_and_b32 s82, s82, 0xffffff                               // 000000005D80: 8652FF52 00FFFFFF
	s_mul_i32 s82, s82, s71                                    // 000000005D88: 92524752
	s_mul_i32 s61, s60, s61                                    // 000000005D8C: 923D3D3C
	s_add_u32 s82, s82, s61                                    // 000000005D90: 80523D52
	v_mul_lo_u32 v6, v5, s82                                   // 000000005D94: D2850006 0000A505
	v_readlane_b32 s82, v3, 39                                 // 000000005D9C: D2890052 00014F03
	s_lshr_b32 s61, s82, 24                                    // 000000005DA4: 8F3D9852
	s_and_b32 s82, s82, 0xffffff                               // 000000005DA8: 8652FF52 00FFFFFF
	s_mul_i32 s82, s82, s71                                    // 000000005DB0: 92524752
	s_mul_i32 s61, s60, s61                                    // 000000005DB4: 923D3D3C
	s_add_u32 s82, s82, s61                                    // 000000005DB8: 80523D52
	v_mul_lo_u32 v7, v4, s82                                   // 000000005DBC: D2850007 0000A504
	v_add_u32_e32 v87, v6, v7                                  // 000000005DC4: 68AE0F06
	v_and_b32_e32 v4, 31, v0                                   // 000000005DC8: 2608009F
	v_lshrrev_b32_e32 v4, 1, v4                                // 000000005DCC: 20080881
	s_cmp_eq_u32 s88, 0                                        // 000000005DD0: BF068058
	s_cselect_b32 s61, 2, 4                                    // 000000005DD4: 853D8482
	v_mul_lo_u32 v4, v4, s61                                   // 000000005DD8: D2850004 00007B04
	v_and_b32_e64 v5, v0, 1                                    // 000000005DE0: D1130005 00010300
	v_add_u32_e32 v4, v4, v5                                   // 000000005DE8: 68080B04
	v_lshlrev_b32_e32 v4, 2, v4                                // 000000005DEC: 24080882
	v_add_u32_e32 v68, v68, v4                                 // 000000005DF0: 68880944
	v_add_u32_e32 v69, v69, v4                                 // 000000005DF4: 688A0945
	v_add_u32_e32 v70, v70, v4                                 // 000000005DF8: 688C0946
	v_add_u32_e32 v71, v71, v4                                 // 000000005DFC: 688E0947
	v_add_u32_e32 v72, v72, v4                                 // 000000005E00: 68900948
	v_add_u32_e32 v73, v73, v4                                 // 000000005E04: 68920949
	v_add_u32_e32 v74, v74, v4                                 // 000000005E08: 6894094A
	v_add_u32_e32 v75, v75, v4                                 // 000000005E0C: 6896094B
	v_add_u32_e32 v76, v76, v4                                 // 000000005E10: 6898094C
	v_add_u32_e32 v77, v77, v4                                 // 000000005E14: 689A094D
	v_add_u32_e32 v78, v78, v4                                 // 000000005E18: 689C094E
	v_add_u32_e32 v79, v79, v4                                 // 000000005E1C: 689E094F
	v_add_u32_e32 v80, v80, v4                                 // 000000005E20: 68A00950
	v_add_u32_e32 v81, v81, v4                                 // 000000005E24: 68A20951
	v_add_u32_e32 v82, v82, v4                                 // 000000005E28: 68A40952
	v_add_u32_e32 v83, v83, v4                                 // 000000005E2C: 68A60953
	v_add_u32_e32 v84, v84, v4                                 // 000000005E30: 68A80954
	v_add_u32_e32 v85, v85, v4                                 // 000000005E34: 68AA0955
	v_add_u32_e32 v86, v86, v4                                 // 000000005E38: 68AC0956
	v_add_u32_e32 v87, v87, v4                                 // 000000005E3C: 68AE0957
	s_waitcnt lgkmcnt(0)                                       // 000000005E40: BF8CC07F
	s_barrier                                                  // 000000005E44: BF8A0000
	ds_read_b32 v92, v21                                       // 000000005E48: D86C0000 5C000015
	ds_read_b32 v93, v21 offset:64                             // 000000005E50: D86C0040 5D000015
	ds_read_b32 v94, v21 offset:2176                           // 000000005E58: D86C0880 5E000015
	ds_read_b32 v95, v21 offset:2240                           // 000000005E60: D86C08C0 5F000015
	ds_read_b32 v96, v21 offset:4352                           // 000000005E68: D86C1100 60000015
	ds_read_b32 v97, v21 offset:4416                           // 000000005E70: D86C1140 61000015
	ds_read_b32 v98, v21 offset:6528                           // 000000005E78: D86C1980 62000015
	ds_read_b32 v99, v21 offset:6592                           // 000000005E80: D86C19C0 63000015
	ds_read_b32 v100, v21 offset:8704                          // 000000005E88: D86C2200 64000015
	ds_read_b32 v101, v21 offset:8768                          // 000000005E90: D86C2240 65000015
	ds_read_b32 v102, v21 offset:10880                         // 000000005E98: D86C2A80 66000015
	ds_read_b32 v103, v21 offset:10944                         // 000000005EA0: D86C2AC0 67000015
	ds_read_b32 v104, v21 offset:13056                         // 000000005EA8: D86C3300 68000015
	ds_read_b32 v105, v21 offset:13120                         // 000000005EB0: D86C3340 69000015
	ds_read_b32 v106, v21 offset:15232                         // 000000005EB8: D86C3B80 6A000015
	ds_read_b32 v107, v21 offset:15296                         // 000000005EC0: D86C3BC0 6B000015
	ds_read_b32 v108, v21 offset:17408                         // 000000005EC8: D86C4400 6C000015
	ds_read_b32 v109, v21 offset:17472                         // 000000005ED0: D86C4440 6D000015
	ds_read_b32 v110, v21 offset:19584                         // 000000005ED8: D86C4C80 6E000015
	ds_read_b32 v111, v21 offset:19648                         // 000000005EE0: D86C4CC0 6F000015
	s_waitcnt lgkmcnt(0)                                       // 000000005EE8: BF8CC07F
	s_mov_b32 s36, -1                                          // 000000005EEC: BEA400C1
	s_mov_b32 s37, -1                                          // 000000005EF0: BEA500C1
	v_mov_b32_e32 v7, 0                                        // 000000005EF4: 7E0E0280
	s_or_b32 s9, s9, 0x40000                                   // 000000005EF8: 8709FF09 00040000
	s_mov_b64 exec, s[36:37]                                   // 000000005F00: BEFE0124
	v_mov_b32_e32 v6, v68                                      // 000000005F04: 7E0C0344
	s_mov_b64 s[60:61], 0                                      // 000000005F08: BEBC0180
	v_readlane_b32 s82, v3, 0                                  // 000000005F0C: D2890052 00010103
	s_and_b32 s82, s82, 0xffffff                               // 000000005F14: 8652FF52 00FFFFFF
	s_cmp_lt_u32 s82, s66                                      // 000000005F1C: BF0A4252
	s_cselect_b32 s20, s36, s60                                // 000000005F20: 85143C24
	v_readlane_b32 s82, v3, 1                                  // 000000005F24: D2890052 00010303
	s_and_b32 s82, s82, 0xffffff                               // 000000005F2C: 8652FF52 00FFFFFF
	s_cmp_lt_u32 s82, s66                                      // 000000005F34: BF0A4252
	s_cselect_b32 s21, s36, s60                                // 000000005F38: 85153C24
	s_mov_b64 exec, s[20:21]                                   // 000000005F3C: BEFE0114
	buffer_store_dword v92, v6, s[8:11], 0 offen               // 000000005F40: E0701000 80025C06
	s_mov_b64 exec, s[36:37]                                   // 000000005F48: BEFE0124
	v_mov_b32_e32 v6, v69                                      // 000000005F4C: 7E0C0345
	s_mov_b64 s[60:61], 0                                      // 000000005F50: BEBC0180
	v_readlane_b32 s82, v3, 2                                  // 000000005F54: D2890052 00010503
	s_and_b32 s82, s82, 0xffffff                               // 000000005F5C: 8652FF52 00FFFFFF
	s_cmp_lt_u32 s82, s66                                      // 000000005F64: BF0A4252
	s_cselect_b32 s20, s36, s60                                // 000000005F68: 85143C24
	v_readlane_b32 s82, v3, 3                                  // 000000005F6C: D2890052 00010703
	s_and_b32 s82, s82, 0xffffff                               // 000000005F74: 8652FF52 00FFFFFF
	s_cmp_lt_u32 s82, s66                                      // 000000005F7C: BF0A4252
	s_cselect_b32 s21, s36, s60                                // 000000005F80: 85153C24
	s_mov_b64 exec, s[20:21]                                   // 000000005F84: BEFE0114
	buffer_store_dword v93, v6, s[8:11], 0 offen               // 000000005F88: E0701000 80025D06
	s_mov_b64 exec, s[36:37]                                   // 000000005F90: BEFE0124
	v_mov_b32_e32 v6, v70                                      // 000000005F94: 7E0C0346
	s_mov_b64 s[60:61], 0                                      // 000000005F98: BEBC0180
	v_readlane_b32 s82, v3, 4                                  // 000000005F9C: D2890052 00010903
	s_and_b32 s82, s82, 0xffffff                               // 000000005FA4: 8652FF52 00FFFFFF
	s_cmp_lt_u32 s82, s66                                      // 000000005FAC: BF0A4252
	s_cselect_b32 s20, s36, s60                                // 000000005FB0: 85143C24
	v_readlane_b32 s82, v3, 5                                  // 000000005FB4: D2890052 00010B03
	s_and_b32 s82, s82, 0xffffff                               // 000000005FBC: 8652FF52 00FFFFFF
	s_cmp_lt_u32 s82, s66                                      // 000000005FC4: BF0A4252
	s_cselect_b32 s21, s36, s60                                // 000000005FC8: 85153C24
	s_mov_b64 exec, s[20:21]                                   // 000000005FCC: BEFE0114
	buffer_store_dword v94, v6, s[8:11], 0 offen               // 000000005FD0: E0701000 80025E06
	s_mov_b64 exec, s[36:37]                                   // 000000005FD8: BEFE0124
	v_mov_b32_e32 v6, v71                                      // 000000005FDC: 7E0C0347
	s_mov_b64 s[60:61], 0                                      // 000000005FE0: BEBC0180
	v_readlane_b32 s82, v3, 6                                  // 000000005FE4: D2890052 00010D03
	s_and_b32 s82, s82, 0xffffff                               // 000000005FEC: 8652FF52 00FFFFFF
	s_cmp_lt_u32 s82, s66                                      // 000000005FF4: BF0A4252
	s_cselect_b32 s20, s36, s60                                // 000000005FF8: 85143C24
	v_readlane_b32 s82, v3, 7                                  // 000000005FFC: D2890052 00010F03
	s_and_b32 s82, s82, 0xffffff                               // 000000006004: 8652FF52 00FFFFFF
	s_cmp_lt_u32 s82, s66                                      // 00000000600C: BF0A4252
	s_cselect_b32 s21, s36, s60                                // 000000006010: 85153C24
	s_mov_b64 exec, s[20:21]                                   // 000000006014: BEFE0114
	buffer_store_dword v95, v6, s[8:11], 0 offen               // 000000006018: E0701000 80025F06
	s_mov_b64 exec, s[36:37]                                   // 000000006020: BEFE0124
	v_mov_b32_e32 v6, v72                                      // 000000006024: 7E0C0348
	s_mov_b64 s[60:61], 0                                      // 000000006028: BEBC0180
	v_readlane_b32 s82, v3, 8                                  // 00000000602C: D2890052 00011103
	s_and_b32 s82, s82, 0xffffff                               // 000000006034: 8652FF52 00FFFFFF
	s_cmp_lt_u32 s82, s66                                      // 00000000603C: BF0A4252
	s_cselect_b32 s20, s36, s60                                // 000000006040: 85143C24
	v_readlane_b32 s82, v3, 9                                  // 000000006044: D2890052 00011303
	s_and_b32 s82, s82, 0xffffff                               // 00000000604C: 8652FF52 00FFFFFF
	s_cmp_lt_u32 s82, s66                                      // 000000006054: BF0A4252
	s_cselect_b32 s21, s36, s60                                // 000000006058: 85153C24
	s_mov_b64 exec, s[20:21]                                   // 00000000605C: BEFE0114
	buffer_store_dword v96, v6, s[8:11], 0 offen               // 000000006060: E0701000 80026006
	s_mov_b64 exec, s[36:37]                                   // 000000006068: BEFE0124
	v_mov_b32_e32 v6, v73                                      // 00000000606C: 7E0C0349
	s_mov_b64 s[60:61], 0                                      // 000000006070: BEBC0180
	v_readlane_b32 s82, v3, 10                                 // 000000006074: D2890052 00011503
	s_and_b32 s82, s82, 0xffffff                               // 00000000607C: 8652FF52 00FFFFFF
	s_cmp_lt_u32 s82, s66                                      // 000000006084: BF0A4252
	s_cselect_b32 s20, s36, s60                                // 000000006088: 85143C24
	v_readlane_b32 s82, v3, 11                                 // 00000000608C: D2890052 00011703
	s_and_b32 s82, s82, 0xffffff                               // 000000006094: 8652FF52 00FFFFFF
	s_cmp_lt_u32 s82, s66                                      // 00000000609C: BF0A4252
	s_cselect_b32 s21, s36, s60                                // 0000000060A0: 85153C24
	s_mov_b64 exec, s[20:21]                                   // 0000000060A4: BEFE0114
	buffer_store_dword v97, v6, s[8:11], 0 offen               // 0000000060A8: E0701000 80026106
	s_mov_b64 exec, s[36:37]                                   // 0000000060B0: BEFE0124
	v_mov_b32_e32 v6, v74                                      // 0000000060B4: 7E0C034A
	s_mov_b64 s[60:61], 0                                      // 0000000060B8: BEBC0180
	v_readlane_b32 s82, v3, 12                                 // 0000000060BC: D2890052 00011903
	s_and_b32 s82, s82, 0xffffff                               // 0000000060C4: 8652FF52 00FFFFFF
	s_cmp_lt_u32 s82, s66                                      // 0000000060CC: BF0A4252
	s_cselect_b32 s20, s36, s60                                // 0000000060D0: 85143C24
	v_readlane_b32 s82, v3, 13                                 // 0000000060D4: D2890052 00011B03
	s_and_b32 s82, s82, 0xffffff                               // 0000000060DC: 8652FF52 00FFFFFF
	s_cmp_lt_u32 s82, s66                                      // 0000000060E4: BF0A4252
	s_cselect_b32 s21, s36, s60                                // 0000000060E8: 85153C24
	s_mov_b64 exec, s[20:21]                                   // 0000000060EC: BEFE0114
	buffer_store_dword v98, v6, s[8:11], 0 offen               // 0000000060F0: E0701000 80026206
	s_mov_b64 exec, s[36:37]                                   // 0000000060F8: BEFE0124
	v_mov_b32_e32 v6, v75                                      // 0000000060FC: 7E0C034B
	s_mov_b64 s[60:61], 0                                      // 000000006100: BEBC0180
	v_readlane_b32 s82, v3, 14                                 // 000000006104: D2890052 00011D03
	s_and_b32 s82, s82, 0xffffff                               // 00000000610C: 8652FF52 00FFFFFF
	s_cmp_lt_u32 s82, s66                                      // 000000006114: BF0A4252
	s_cselect_b32 s20, s36, s60                                // 000000006118: 85143C24
	v_readlane_b32 s82, v3, 15                                 // 00000000611C: D2890052 00011F03
	s_and_b32 s82, s82, 0xffffff                               // 000000006124: 8652FF52 00FFFFFF
	s_cmp_lt_u32 s82, s66                                      // 00000000612C: BF0A4252
	s_cselect_b32 s21, s36, s60                                // 000000006130: 85153C24
	s_mov_b64 exec, s[20:21]                                   // 000000006134: BEFE0114
	buffer_store_dword v99, v6, s[8:11], 0 offen               // 000000006138: E0701000 80026306
	s_mov_b64 exec, s[36:37]                                   // 000000006140: BEFE0124
	v_mov_b32_e32 v6, v76                                      // 000000006144: 7E0C034C
	s_mov_b64 s[60:61], 0                                      // 000000006148: BEBC0180
	v_readlane_b32 s82, v3, 16                                 // 00000000614C: D2890052 00012103
	s_and_b32 s82, s82, 0xffffff                               // 000000006154: 8652FF52 00FFFFFF
	s_cmp_lt_u32 s82, s66                                      // 00000000615C: BF0A4252
	s_cselect_b32 s20, s36, s60                                // 000000006160: 85143C24
	v_readlane_b32 s82, v3, 17                                 // 000000006164: D2890052 00012303
	s_and_b32 s82, s82, 0xffffff                               // 00000000616C: 8652FF52 00FFFFFF
	s_cmp_lt_u32 s82, s66                                      // 000000006174: BF0A4252
	s_cselect_b32 s21, s36, s60                                // 000000006178: 85153C24
	s_mov_b64 exec, s[20:21]                                   // 00000000617C: BEFE0114
	buffer_store_dword v100, v6, s[8:11], 0 offen              // 000000006180: E0701000 80026406
	s_mov_b64 exec, s[36:37]                                   // 000000006188: BEFE0124
	v_mov_b32_e32 v6, v77                                      // 00000000618C: 7E0C034D
	s_mov_b64 s[60:61], 0                                      // 000000006190: BEBC0180
	v_readlane_b32 s82, v3, 18                                 // 000000006194: D2890052 00012503
	s_and_b32 s82, s82, 0xffffff                               // 00000000619C: 8652FF52 00FFFFFF
	s_cmp_lt_u32 s82, s66                                      // 0000000061A4: BF0A4252
	s_cselect_b32 s20, s36, s60                                // 0000000061A8: 85143C24
	v_readlane_b32 s82, v3, 19                                 // 0000000061AC: D2890052 00012703
	s_and_b32 s82, s82, 0xffffff                               // 0000000061B4: 8652FF52 00FFFFFF
	s_cmp_lt_u32 s82, s66                                      // 0000000061BC: BF0A4252
	s_cselect_b32 s21, s36, s60                                // 0000000061C0: 85153C24
	s_mov_b64 exec, s[20:21]                                   // 0000000061C4: BEFE0114
	buffer_store_dword v101, v6, s[8:11], 0 offen              // 0000000061C8: E0701000 80026506
	s_mov_b64 exec, s[36:37]                                   // 0000000061D0: BEFE0124
	v_mov_b32_e32 v6, v78                                      // 0000000061D4: 7E0C034E
	s_mov_b64 s[60:61], 0                                      // 0000000061D8: BEBC0180
	v_readlane_b32 s82, v3, 20                                 // 0000000061DC: D2890052 00012903
	s_and_b32 s82, s82, 0xffffff                               // 0000000061E4: 8652FF52 00FFFFFF
	s_cmp_lt_u32 s82, s66                                      // 0000000061EC: BF0A4252
	s_cselect_b32 s20, s36, s60                                // 0000000061F0: 85143C24
	v_readlane_b32 s82, v3, 21                                 // 0000000061F4: D2890052 00012B03
	s_and_b32 s82, s82, 0xffffff                               // 0000000061FC: 8652FF52 00FFFFFF
	s_cmp_lt_u32 s82, s66                                      // 000000006204: BF0A4252
	s_cselect_b32 s21, s36, s60                                // 000000006208: 85153C24
	s_mov_b64 exec, s[20:21]                                   // 00000000620C: BEFE0114
	buffer_store_dword v102, v6, s[8:11], 0 offen              // 000000006210: E0701000 80026606
	s_mov_b64 exec, s[36:37]                                   // 000000006218: BEFE0124
	v_mov_b32_e32 v6, v79                                      // 00000000621C: 7E0C034F
	s_mov_b64 s[60:61], 0                                      // 000000006220: BEBC0180
	v_readlane_b32 s82, v3, 22                                 // 000000006224: D2890052 00012D03
	s_and_b32 s82, s82, 0xffffff                               // 00000000622C: 8652FF52 00FFFFFF
	s_cmp_lt_u32 s82, s66                                      // 000000006234: BF0A4252
	s_cselect_b32 s20, s36, s60                                // 000000006238: 85143C24
	v_readlane_b32 s82, v3, 23                                 // 00000000623C: D2890052 00012F03
	s_and_b32 s82, s82, 0xffffff                               // 000000006244: 8652FF52 00FFFFFF
	s_cmp_lt_u32 s82, s66                                      // 00000000624C: BF0A4252
	s_cselect_b32 s21, s36, s60                                // 000000006250: 85153C24
	s_mov_b64 exec, s[20:21]                                   // 000000006254: BEFE0114
	buffer_store_dword v103, v6, s[8:11], 0 offen              // 000000006258: E0701000 80026706
	s_mov_b64 exec, s[36:37]                                   // 000000006260: BEFE0124
	v_mov_b32_e32 v6, v80                                      // 000000006264: 7E0C0350
	s_mov_b64 s[60:61], 0                                      // 000000006268: BEBC0180
	v_readlane_b32 s82, v3, 24                                 // 00000000626C: D2890052 00013103
	s_and_b32 s82, s82, 0xffffff                               // 000000006274: 8652FF52 00FFFFFF
	s_cmp_lt_u32 s82, s66                                      // 00000000627C: BF0A4252
	s_cselect_b32 s20, s36, s60                                // 000000006280: 85143C24
	v_readlane_b32 s82, v3, 25                                 // 000000006284: D2890052 00013303
	s_and_b32 s82, s82, 0xffffff                               // 00000000628C: 8652FF52 00FFFFFF
	s_cmp_lt_u32 s82, s66                                      // 000000006294: BF0A4252
	s_cselect_b32 s21, s36, s60                                // 000000006298: 85153C24
	s_mov_b64 exec, s[20:21]                                   // 00000000629C: BEFE0114
	buffer_store_dword v104, v6, s[8:11], 0 offen              // 0000000062A0: E0701000 80026806
	s_mov_b64 exec, s[36:37]                                   // 0000000062A8: BEFE0124
	v_mov_b32_e32 v6, v81                                      // 0000000062AC: 7E0C0351
	s_mov_b64 s[60:61], 0                                      // 0000000062B0: BEBC0180
	v_readlane_b32 s82, v3, 26                                 // 0000000062B4: D2890052 00013503
	s_and_b32 s82, s82, 0xffffff                               // 0000000062BC: 8652FF52 00FFFFFF
	s_cmp_lt_u32 s82, s66                                      // 0000000062C4: BF0A4252
	s_cselect_b32 s20, s36, s60                                // 0000000062C8: 85143C24
	v_readlane_b32 s82, v3, 27                                 // 0000000062CC: D2890052 00013703
	s_and_b32 s82, s82, 0xffffff                               // 0000000062D4: 8652FF52 00FFFFFF
	s_cmp_lt_u32 s82, s66                                      // 0000000062DC: BF0A4252
	s_cselect_b32 s21, s36, s60                                // 0000000062E0: 85153C24
	s_mov_b64 exec, s[20:21]                                   // 0000000062E4: BEFE0114
	buffer_store_dword v105, v6, s[8:11], 0 offen              // 0000000062E8: E0701000 80026906
	s_mov_b64 exec, s[36:37]                                   // 0000000062F0: BEFE0124
	v_mov_b32_e32 v6, v82                                      // 0000000062F4: 7E0C0352
	s_mov_b64 s[60:61], 0                                      // 0000000062F8: BEBC0180
	v_readlane_b32 s82, v3, 28                                 // 0000000062FC: D2890052 00013903
	s_and_b32 s82, s82, 0xffffff                               // 000000006304: 8652FF52 00FFFFFF
	s_cmp_lt_u32 s82, s66                                      // 00000000630C: BF0A4252
	s_cselect_b32 s20, s36, s60                                // 000000006310: 85143C24
	v_readlane_b32 s82, v3, 29                                 // 000000006314: D2890052 00013B03
	s_and_b32 s82, s82, 0xffffff                               // 00000000631C: 8652FF52 00FFFFFF
	s_cmp_lt_u32 s82, s66                                      // 000000006324: BF0A4252
	s_cselect_b32 s21, s36, s60                                // 000000006328: 85153C24
	s_mov_b64 exec, s[20:21]                                   // 00000000632C: BEFE0114
	buffer_store_dword v106, v6, s[8:11], 0 offen              // 000000006330: E0701000 80026A06
	s_mov_b64 exec, s[36:37]                                   // 000000006338: BEFE0124
	v_mov_b32_e32 v6, v83                                      // 00000000633C: 7E0C0353
	s_mov_b64 s[60:61], 0                                      // 000000006340: BEBC0180
	v_readlane_b32 s82, v3, 30                                 // 000000006344: D2890052 00013D03
	s_and_b32 s82, s82, 0xffffff                               // 00000000634C: 8652FF52 00FFFFFF
	s_cmp_lt_u32 s82, s66                                      // 000000006354: BF0A4252
	s_cselect_b32 s20, s36, s60                                // 000000006358: 85143C24
	v_readlane_b32 s82, v3, 31                                 // 00000000635C: D2890052 00013F03
	s_and_b32 s82, s82, 0xffffff                               // 000000006364: 8652FF52 00FFFFFF
	s_cmp_lt_u32 s82, s66                                      // 00000000636C: BF0A4252
	s_cselect_b32 s21, s36, s60                                // 000000006370: 85153C24
	s_mov_b64 exec, s[20:21]                                   // 000000006374: BEFE0114
	buffer_store_dword v107, v6, s[8:11], 0 offen              // 000000006378: E0701000 80026B06
	s_mov_b64 exec, s[36:37]                                   // 000000006380: BEFE0124
	v_mov_b32_e32 v6, v84                                      // 000000006384: 7E0C0354
	s_mov_b64 s[60:61], 0                                      // 000000006388: BEBC0180
	v_readlane_b32 s82, v3, 32                                 // 00000000638C: D2890052 00014103
	s_and_b32 s82, s82, 0xffffff                               // 000000006394: 8652FF52 00FFFFFF
	s_cmp_lt_u32 s82, s66                                      // 00000000639C: BF0A4252
	s_cselect_b32 s20, s36, s60                                // 0000000063A0: 85143C24
	v_readlane_b32 s82, v3, 33                                 // 0000000063A4: D2890052 00014303
	s_and_b32 s82, s82, 0xffffff                               // 0000000063AC: 8652FF52 00FFFFFF
	s_cmp_lt_u32 s82, s66                                      // 0000000063B4: BF0A4252
	s_cselect_b32 s21, s36, s60                                // 0000000063B8: 85153C24
	s_mov_b64 exec, s[20:21]                                   // 0000000063BC: BEFE0114
	buffer_store_dword v108, v6, s[8:11], 0 offen              // 0000000063C0: E0701000 80026C06
	s_mov_b64 exec, s[36:37]                                   // 0000000063C8: BEFE0124
	v_mov_b32_e32 v6, v85                                      // 0000000063CC: 7E0C0355
	s_mov_b64 s[60:61], 0                                      // 0000000063D0: BEBC0180
	v_readlane_b32 s82, v3, 34                                 // 0000000063D4: D2890052 00014503
	s_and_b32 s82, s82, 0xffffff                               // 0000000063DC: 8652FF52 00FFFFFF
	s_cmp_lt_u32 s82, s66                                      // 0000000063E4: BF0A4252
	s_cselect_b32 s20, s36, s60                                // 0000000063E8: 85143C24
	v_readlane_b32 s82, v3, 35                                 // 0000000063EC: D2890052 00014703
	s_and_b32 s82, s82, 0xffffff                               // 0000000063F4: 8652FF52 00FFFFFF
	s_cmp_lt_u32 s82, s66                                      // 0000000063FC: BF0A4252
	s_cselect_b32 s21, s36, s60                                // 000000006400: 85153C24
	s_mov_b64 exec, s[20:21]                                   // 000000006404: BEFE0114
	buffer_store_dword v109, v6, s[8:11], 0 offen              // 000000006408: E0701000 80026D06
	s_mov_b64 exec, s[36:37]                                   // 000000006410: BEFE0124
	v_mov_b32_e32 v6, v86                                      // 000000006414: 7E0C0356
	s_mov_b64 s[60:61], 0                                      // 000000006418: BEBC0180
	v_readlane_b32 s82, v3, 36                                 // 00000000641C: D2890052 00014903
	s_and_b32 s82, s82, 0xffffff                               // 000000006424: 8652FF52 00FFFFFF
	s_cmp_lt_u32 s82, s66                                      // 00000000642C: BF0A4252
	s_cselect_b32 s20, s36, s60                                // 000000006430: 85143C24
	v_readlane_b32 s82, v3, 37                                 // 000000006434: D2890052 00014B03
	s_and_b32 s82, s82, 0xffffff                               // 00000000643C: 8652FF52 00FFFFFF
	s_cmp_lt_u32 s82, s66                                      // 000000006444: BF0A4252
	s_cselect_b32 s21, s36, s60                                // 000000006448: 85153C24
	s_mov_b64 exec, s[20:21]                                   // 00000000644C: BEFE0114
	buffer_store_dword v110, v6, s[8:11], 0 offen              // 000000006450: E0701000 80026E06
	s_mov_b64 exec, s[36:37]                                   // 000000006458: BEFE0124
	v_mov_b32_e32 v6, v87                                      // 00000000645C: 7E0C0357
	s_mov_b64 s[60:61], 0                                      // 000000006460: BEBC0180
	v_readlane_b32 s82, v3, 38                                 // 000000006464: D2890052 00014D03
	s_and_b32 s82, s82, 0xffffff                               // 00000000646C: 8652FF52 00FFFFFF
	s_cmp_lt_u32 s82, s66                                      // 000000006474: BF0A4252
	s_cselect_b32 s20, s36, s60                                // 000000006478: 85143C24
	v_readlane_b32 s82, v3, 39                                 // 00000000647C: D2890052 00014F03
	s_and_b32 s82, s82, 0xffffff                               // 000000006484: 8652FF52 00FFFFFF
	s_cmp_lt_u32 s82, s66                                      // 00000000648C: BF0A4252
	s_cselect_b32 s21, s36, s60                                // 000000006490: 85153C24
	s_mov_b64 exec, s[20:21]                                   // 000000006494: BEFE0114
	buffer_store_dword v111, v6, s[8:11], 0 offen              // 000000006498: E0701000 80026F06
	s_mov_b64 exec, s[36:37]                                   // 0000000064A0: BEFE0124
	s_branch label_2A6B                                        // 0000000064A4: BF821BBE

00000000000064a8 <label_0EAA>:
	ds_write_b64 v20, v[92:93]                                 // 0000000064A8: D89A0000 00005C14
	ds_write_b64 v20, v[96:97] offset:2176                     // 0000000064B0: D89A0880 00006014
	ds_write_b64 v20, v[100:101] offset:4352                   // 0000000064B8: D89A1100 00006414
	ds_write_b64 v20, v[104:105] offset:6528                   // 0000000064C0: D89A1980 00006814
	ds_write_b64 v20, v[108:109] offset:8704                   // 0000000064C8: D89A2200 00006C14
	ds_write_b64 v20, v[112:113] offset:10880                  // 0000000064D0: D89A2A80 00007014
	ds_write_b64 v20, v[116:117] offset:13056                  // 0000000064D8: D89A3300 00007414
	ds_write_b64 v20, v[120:121] offset:15232                  // 0000000064E0: D89A3B80 00007814
	ds_write_b64 v20, v[124:125] offset:17408                  // 0000000064E8: D89A4400 00007C14
	ds_write_b64 v20, v[128:129] offset:19584                  // 0000000064F0: D89A4C80 00008014
	v_lshrrev_b32_e32 v4, 5, v0                                // 0000000064F8: 20080085
	v_xor_b32_e32 v5, 1, v4                                    // 0000000064FC: 2A0A0881
	s_mul_i32 s60, s65, 2                                      // 000000006500: 923C8241
	s_cmp_eq_u32 s88, 0                                        // 000000006504: BF068058
	s_cselect_b32 s61, 1, 4                                    // 000000006508: 853D8481
	s_mul_i32 s60, s61, s60                                    // 00000000650C: 923C3C3D
	v_readlane_b32 s82, v3, 0                                  // 000000006510: D2890052 00010103
	s_lshr_b32 s61, s82, 24                                    // 000000006518: 8F3D9852
	s_and_b32 s82, s82, 0xffffff                               // 00000000651C: 8652FF52 00FFFFFF
	s_mul_i32 s82, s82, s71                                    // 000000006524: 92524752
	s_mul_i32 s61, s60, s61                                    // 000000006528: 923D3D3C
	s_add_u32 s82, s82, s61                                    // 00000000652C: 80523D52
	v_mul_lo_u32 v6, v5, s82                                   // 000000006530: D2850006 0000A505
	v_readlane_b32 s82, v3, 1                                  // 000000006538: D2890052 00010303
	s_lshr_b32 s61, s82, 24                                    // 000000006540: 8F3D9852
	s_and_b32 s82, s82, 0xffffff                               // 000000006544: 8652FF52 00FFFFFF
	s_mul_i32 s82, s82, s71                                    // 00000000654C: 92524752
	s_mul_i32 s61, s60, s61                                    // 000000006550: 923D3D3C
	s_add_u32 s82, s82, s61                                    // 000000006554: 80523D52
	v_mul_lo_u32 v7, v4, s82                                   // 000000006558: D2850007 0000A504
	v_add_u32_e32 v68, v6, v7                                  // 000000006560: 68880F06
	v_readlane_b32 s82, v3, 2                                  // 000000006564: D2890052 00010503
	s_lshr_b32 s61, s82, 24                                    // 00000000656C: 8F3D9852
	s_and_b32 s82, s82, 0xffffff                               // 000000006570: 8652FF52 00FFFFFF
	s_mul_i32 s82, s82, s71                                    // 000000006578: 92524752
	s_mul_i32 s61, s60, s61                                    // 00000000657C: 923D3D3C
	s_add_u32 s82, s82, s61                                    // 000000006580: 80523D52
	v_mul_lo_u32 v6, v5, s82                                   // 000000006584: D2850006 0000A505
	v_readlane_b32 s82, v3, 3                                  // 00000000658C: D2890052 00010703
	s_lshr_b32 s61, s82, 24                                    // 000000006594: 8F3D9852
	s_and_b32 s82, s82, 0xffffff                               // 000000006598: 8652FF52 00FFFFFF
	s_mul_i32 s82, s82, s71                                    // 0000000065A0: 92524752
	s_mul_i32 s61, s60, s61                                    // 0000000065A4: 923D3D3C
	s_add_u32 s82, s82, s61                                    // 0000000065A8: 80523D52
	v_mul_lo_u32 v7, v4, s82                                   // 0000000065AC: D2850007 0000A504
	v_add_u32_e32 v69, v6, v7                                  // 0000000065B4: 688A0F06
	v_readlane_b32 s82, v3, 4                                  // 0000000065B8: D2890052 00010903
	s_lshr_b32 s61, s82, 24                                    // 0000000065C0: 8F3D9852
	s_and_b32 s82, s82, 0xffffff                               // 0000000065C4: 8652FF52 00FFFFFF
	s_mul_i32 s82, s82, s71                                    // 0000000065CC: 92524752
	s_mul_i32 s61, s60, s61                                    // 0000000065D0: 923D3D3C
	s_add_u32 s82, s82, s61                                    // 0000000065D4: 80523D52
	v_mul_lo_u32 v6, v5, s82                                   // 0000000065D8: D2850006 0000A505
	v_readlane_b32 s82, v3, 5                                  // 0000000065E0: D2890052 00010B03
	s_lshr_b32 s61, s82, 24                                    // 0000000065E8: 8F3D9852
	s_and_b32 s82, s82, 0xffffff                               // 0000000065EC: 8652FF52 00FFFFFF
	s_mul_i32 s82, s82, s71                                    // 0000000065F4: 92524752
	s_mul_i32 s61, s60, s61                                    // 0000000065F8: 923D3D3C
	s_add_u32 s82, s82, s61                                    // 0000000065FC: 80523D52
	v_mul_lo_u32 v7, v4, s82                                   // 000000006600: D2850007 0000A504
	v_add_u32_e32 v70, v6, v7                                  // 000000006608: 688C0F06
	v_readlane_b32 s82, v3, 6                                  // 00000000660C: D2890052 00010D03
	s_lshr_b32 s61, s82, 24                                    // 000000006614: 8F3D9852
	s_and_b32 s82, s82, 0xffffff                               // 000000006618: 8652FF52 00FFFFFF
	s_mul_i32 s82, s82, s71                                    // 000000006620: 92524752
	s_mul_i32 s61, s60, s61                                    // 000000006624: 923D3D3C
	s_add_u32 s82, s82, s61                                    // 000000006628: 80523D52
	v_mul_lo_u32 v6, v5, s82                                   // 00000000662C: D2850006 0000A505
	v_readlane_b32 s82, v3, 7                                  // 000000006634: D2890052 00010F03
	s_lshr_b32 s61, s82, 24                                    // 00000000663C: 8F3D9852
	s_and_b32 s82, s82, 0xffffff                               // 000000006640: 8652FF52 00FFFFFF
	s_mul_i32 s82, s82, s71                                    // 000000006648: 92524752
	s_mul_i32 s61, s60, s61                                    // 00000000664C: 923D3D3C
	s_add_u32 s82, s82, s61                                    // 000000006650: 80523D52
	v_mul_lo_u32 v7, v4, s82                                   // 000000006654: D2850007 0000A504
	v_add_u32_e32 v71, v6, v7                                  // 00000000665C: 688E0F06
	v_readlane_b32 s82, v3, 8                                  // 000000006660: D2890052 00011103
	s_lshr_b32 s61, s82, 24                                    // 000000006668: 8F3D9852
	s_and_b32 s82, s82, 0xffffff                               // 00000000666C: 8652FF52 00FFFFFF
	s_mul_i32 s82, s82, s71                                    // 000000006674: 92524752
	s_mul_i32 s61, s60, s61                                    // 000000006678: 923D3D3C
	s_add_u32 s82, s82, s61                                    // 00000000667C: 80523D52
	v_mul_lo_u32 v6, v5, s82                                   // 000000006680: D2850006 0000A505
	v_readlane_b32 s82, v3, 9                                  // 000000006688: D2890052 00011303
	s_lshr_b32 s61, s82, 24                                    // 000000006690: 8F3D9852
	s_and_b32 s82, s82, 0xffffff                               // 000000006694: 8652FF52 00FFFFFF
	s_mul_i32 s82, s82, s71                                    // 00000000669C: 92524752
	s_mul_i32 s61, s60, s61                                    // 0000000066A0: 923D3D3C
	s_add_u32 s82, s82, s61                                    // 0000000066A4: 80523D52
	v_mul_lo_u32 v7, v4, s82                                   // 0000000066A8: D2850007 0000A504
	v_add_u32_e32 v72, v6, v7                                  // 0000000066B0: 68900F06
	v_readlane_b32 s82, v3, 10                                 // 0000000066B4: D2890052 00011503
	s_lshr_b32 s61, s82, 24                                    // 0000000066BC: 8F3D9852
	s_and_b32 s82, s82, 0xffffff                               // 0000000066C0: 8652FF52 00FFFFFF
	s_mul_i32 s82, s82, s71                                    // 0000000066C8: 92524752
	s_mul_i32 s61, s60, s61                                    // 0000000066CC: 923D3D3C
	s_add_u32 s82, s82, s61                                    // 0000000066D0: 80523D52
	v_mul_lo_u32 v6, v5, s82                                   // 0000000066D4: D2850006 0000A505
	v_readlane_b32 s82, v3, 11                                 // 0000000066DC: D2890052 00011703
	s_lshr_b32 s61, s82, 24                                    // 0000000066E4: 8F3D9852
	s_and_b32 s82, s82, 0xffffff                               // 0000000066E8: 8652FF52 00FFFFFF
	s_mul_i32 s82, s82, s71                                    // 0000000066F0: 92524752
	s_mul_i32 s61, s60, s61                                    // 0000000066F4: 923D3D3C
	s_add_u32 s82, s82, s61                                    // 0000000066F8: 80523D52
	v_mul_lo_u32 v7, v4, s82                                   // 0000000066FC: D2850007 0000A504
	v_add_u32_e32 v73, v6, v7                                  // 000000006704: 68920F06
	v_readlane_b32 s82, v3, 12                                 // 000000006708: D2890052 00011903
	s_lshr_b32 s61, s82, 24                                    // 000000006710: 8F3D9852
	s_and_b32 s82, s82, 0xffffff                               // 000000006714: 8652FF52 00FFFFFF
	s_mul_i32 s82, s82, s71                                    // 00000000671C: 92524752
	s_mul_i32 s61, s60, s61                                    // 000000006720: 923D3D3C
	s_add_u32 s82, s82, s61                                    // 000000006724: 80523D52
	v_mul_lo_u32 v6, v5, s82                                   // 000000006728: D2850006 0000A505
	v_readlane_b32 s82, v3, 13                                 // 000000006730: D2890052 00011B03
	s_lshr_b32 s61, s82, 24                                    // 000000006738: 8F3D9852
	s_and_b32 s82, s82, 0xffffff                               // 00000000673C: 8652FF52 00FFFFFF
	s_mul_i32 s82, s82, s71                                    // 000000006744: 92524752
	s_mul_i32 s61, s60, s61                                    // 000000006748: 923D3D3C
	s_add_u32 s82, s82, s61                                    // 00000000674C: 80523D52
	v_mul_lo_u32 v7, v4, s82                                   // 000000006750: D2850007 0000A504
	v_add_u32_e32 v74, v6, v7                                  // 000000006758: 68940F06
	v_readlane_b32 s82, v3, 14                                 // 00000000675C: D2890052 00011D03
	s_lshr_b32 s61, s82, 24                                    // 000000006764: 8F3D9852
	s_and_b32 s82, s82, 0xffffff                               // 000000006768: 8652FF52 00FFFFFF
	s_mul_i32 s82, s82, s71                                    // 000000006770: 92524752
	s_mul_i32 s61, s60, s61                                    // 000000006774: 923D3D3C
	s_add_u32 s82, s82, s61                                    // 000000006778: 80523D52
	v_mul_lo_u32 v6, v5, s82                                   // 00000000677C: D2850006 0000A505
	v_readlane_b32 s82, v3, 15                                 // 000000006784: D2890052 00011F03
	s_lshr_b32 s61, s82, 24                                    // 00000000678C: 8F3D9852
	s_and_b32 s82, s82, 0xffffff                               // 000000006790: 8652FF52 00FFFFFF
	s_mul_i32 s82, s82, s71                                    // 000000006798: 92524752
	s_mul_i32 s61, s60, s61                                    // 00000000679C: 923D3D3C
	s_add_u32 s82, s82, s61                                    // 0000000067A0: 80523D52
	v_mul_lo_u32 v7, v4, s82                                   // 0000000067A4: D2850007 0000A504
	v_add_u32_e32 v75, v6, v7                                  // 0000000067AC: 68960F06
	v_readlane_b32 s82, v3, 16                                 // 0000000067B0: D2890052 00012103
	s_lshr_b32 s61, s82, 24                                    // 0000000067B8: 8F3D9852
	s_and_b32 s82, s82, 0xffffff                               // 0000000067BC: 8652FF52 00FFFFFF
	s_mul_i32 s82, s82, s71                                    // 0000000067C4: 92524752
	s_mul_i32 s61, s60, s61                                    // 0000000067C8: 923D3D3C
	s_add_u32 s82, s82, s61                                    // 0000000067CC: 80523D52
	v_mul_lo_u32 v6, v5, s82                                   // 0000000067D0: D2850006 0000A505
	v_readlane_b32 s82, v3, 17                                 // 0000000067D8: D2890052 00012303
	s_lshr_b32 s61, s82, 24                                    // 0000000067E0: 8F3D9852
	s_and_b32 s82, s82, 0xffffff                               // 0000000067E4: 8652FF52 00FFFFFF
	s_mul_i32 s82, s82, s71                                    // 0000000067EC: 92524752
	s_mul_i32 s61, s60, s61                                    // 0000000067F0: 923D3D3C
	s_add_u32 s82, s82, s61                                    // 0000000067F4: 80523D52
	v_mul_lo_u32 v7, v4, s82                                   // 0000000067F8: D2850007 0000A504
	v_add_u32_e32 v76, v6, v7                                  // 000000006800: 68980F06
	v_readlane_b32 s82, v3, 18                                 // 000000006804: D2890052 00012503
	s_lshr_b32 s61, s82, 24                                    // 00000000680C: 8F3D9852
	s_and_b32 s82, s82, 0xffffff                               // 000000006810: 8652FF52 00FFFFFF
	s_mul_i32 s82, s82, s71                                    // 000000006818: 92524752
	s_mul_i32 s61, s60, s61                                    // 00000000681C: 923D3D3C
	s_add_u32 s82, s82, s61                                    // 000000006820: 80523D52
	v_mul_lo_u32 v6, v5, s82                                   // 000000006824: D2850006 0000A505
	v_readlane_b32 s82, v3, 19                                 // 00000000682C: D2890052 00012703
	s_lshr_b32 s61, s82, 24                                    // 000000006834: 8F3D9852
	s_and_b32 s82, s82, 0xffffff                               // 000000006838: 8652FF52 00FFFFFF
	s_mul_i32 s82, s82, s71                                    // 000000006840: 92524752
	s_mul_i32 s61, s60, s61                                    // 000000006844: 923D3D3C
	s_add_u32 s82, s82, s61                                    // 000000006848: 80523D52
	v_mul_lo_u32 v7, v4, s82                                   // 00000000684C: D2850007 0000A504
	v_add_u32_e32 v77, v6, v7                                  // 000000006854: 689A0F06
	v_readlane_b32 s82, v3, 20                                 // 000000006858: D2890052 00012903
	s_lshr_b32 s61, s82, 24                                    // 000000006860: 8F3D9852
	s_and_b32 s82, s82, 0xffffff                               // 000000006864: 8652FF52 00FFFFFF
	s_mul_i32 s82, s82, s71                                    // 00000000686C: 92524752
	s_mul_i32 s61, s60, s61                                    // 000000006870: 923D3D3C
	s_add_u32 s82, s82, s61                                    // 000000006874: 80523D52
	v_mul_lo_u32 v6, v5, s82                                   // 000000006878: D2850006 0000A505
	v_readlane_b32 s82, v3, 21                                 // 000000006880: D2890052 00012B03
	s_lshr_b32 s61, s82, 24                                    // 000000006888: 8F3D9852
	s_and_b32 s82, s82, 0xffffff                               // 00000000688C: 8652FF52 00FFFFFF
	s_mul_i32 s82, s82, s71                                    // 000000006894: 92524752
	s_mul_i32 s61, s60, s61                                    // 000000006898: 923D3D3C
	s_add_u32 s82, s82, s61                                    // 00000000689C: 80523D52
	v_mul_lo_u32 v7, v4, s82                                   // 0000000068A0: D2850007 0000A504
	v_add_u32_e32 v78, v6, v7                                  // 0000000068A8: 689C0F06
	v_readlane_b32 s82, v3, 22                                 // 0000000068AC: D2890052 00012D03
	s_lshr_b32 s61, s82, 24                                    // 0000000068B4: 8F3D9852
	s_and_b32 s82, s82, 0xffffff                               // 0000000068B8: 8652FF52 00FFFFFF
	s_mul_i32 s82, s82, s71                                    // 0000000068C0: 92524752
	s_mul_i32 s61, s60, s61                                    // 0000000068C4: 923D3D3C
	s_add_u32 s82, s82, s61                                    // 0000000068C8: 80523D52
	v_mul_lo_u32 v6, v5, s82                                   // 0000000068CC: D2850006 0000A505
	v_readlane_b32 s82, v3, 23                                 // 0000000068D4: D2890052 00012F03
	s_lshr_b32 s61, s82, 24                                    // 0000000068DC: 8F3D9852
	s_and_b32 s82, s82, 0xffffff                               // 0000000068E0: 8652FF52 00FFFFFF
	s_mul_i32 s82, s82, s71                                    // 0000000068E8: 92524752
	s_mul_i32 s61, s60, s61                                    // 0000000068EC: 923D3D3C
	s_add_u32 s82, s82, s61                                    // 0000000068F0: 80523D52
	v_mul_lo_u32 v7, v4, s82                                   // 0000000068F4: D2850007 0000A504
	v_add_u32_e32 v79, v6, v7                                  // 0000000068FC: 689E0F06
	v_readlane_b32 s82, v3, 24                                 // 000000006900: D2890052 00013103
	s_lshr_b32 s61, s82, 24                                    // 000000006908: 8F3D9852
	s_and_b32 s82, s82, 0xffffff                               // 00000000690C: 8652FF52 00FFFFFF
	s_mul_i32 s82, s82, s71                                    // 000000006914: 92524752
	s_mul_i32 s61, s60, s61                                    // 000000006918: 923D3D3C
	s_add_u32 s82, s82, s61                                    // 00000000691C: 80523D52
	v_mul_lo_u32 v6, v5, s82                                   // 000000006920: D2850006 0000A505
	v_readlane_b32 s82, v3, 25                                 // 000000006928: D2890052 00013303
	s_lshr_b32 s61, s82, 24                                    // 000000006930: 8F3D9852
	s_and_b32 s82, s82, 0xffffff                               // 000000006934: 8652FF52 00FFFFFF
	s_mul_i32 s82, s82, s71                                    // 00000000693C: 92524752
	s_mul_i32 s61, s60, s61                                    // 000000006940: 923D3D3C
	s_add_u32 s82, s82, s61                                    // 000000006944: 80523D52
	v_mul_lo_u32 v7, v4, s82                                   // 000000006948: D2850007 0000A504
	v_add_u32_e32 v80, v6, v7                                  // 000000006950: 68A00F06
	v_readlane_b32 s82, v3, 26                                 // 000000006954: D2890052 00013503
	s_lshr_b32 s61, s82, 24                                    // 00000000695C: 8F3D9852
	s_and_b32 s82, s82, 0xffffff                               // 000000006960: 8652FF52 00FFFFFF
	s_mul_i32 s82, s82, s71                                    // 000000006968: 92524752
	s_mul_i32 s61, s60, s61                                    // 00000000696C: 923D3D3C
	s_add_u32 s82, s82, s61                                    // 000000006970: 80523D52
	v_mul_lo_u32 v6, v5, s82                                   // 000000006974: D2850006 0000A505
	v_readlane_b32 s82, v3, 27                                 // 00000000697C: D2890052 00013703
	s_lshr_b32 s61, s82, 24                                    // 000000006984: 8F3D9852
	s_and_b32 s82, s82, 0xffffff                               // 000000006988: 8652FF52 00FFFFFF
	s_mul_i32 s82, s82, s71                                    // 000000006990: 92524752
	s_mul_i32 s61, s60, s61                                    // 000000006994: 923D3D3C
	s_add_u32 s82, s82, s61                                    // 000000006998: 80523D52
	v_mul_lo_u32 v7, v4, s82                                   // 00000000699C: D2850007 0000A504
	v_add_u32_e32 v81, v6, v7                                  // 0000000069A4: 68A20F06
	v_readlane_b32 s82, v3, 28                                 // 0000000069A8: D2890052 00013903
	s_lshr_b32 s61, s82, 24                                    // 0000000069B0: 8F3D9852
	s_and_b32 s82, s82, 0xffffff                               // 0000000069B4: 8652FF52 00FFFFFF
	s_mul_i32 s82, s82, s71                                    // 0000000069BC: 92524752
	s_mul_i32 s61, s60, s61                                    // 0000000069C0: 923D3D3C
	s_add_u32 s82, s82, s61                                    // 0000000069C4: 80523D52
	v_mul_lo_u32 v6, v5, s82                                   // 0000000069C8: D2850006 0000A505
	v_readlane_b32 s82, v3, 29                                 // 0000000069D0: D2890052 00013B03
	s_lshr_b32 s61, s82, 24                                    // 0000000069D8: 8F3D9852
	s_and_b32 s82, s82, 0xffffff                               // 0000000069DC: 8652FF52 00FFFFFF
	s_mul_i32 s82, s82, s71                                    // 0000000069E4: 92524752
	s_mul_i32 s61, s60, s61                                    // 0000000069E8: 923D3D3C
	s_add_u32 s82, s82, s61                                    // 0000000069EC: 80523D52
	v_mul_lo_u32 v7, v4, s82                                   // 0000000069F0: D2850007 0000A504
	v_add_u32_e32 v82, v6, v7                                  // 0000000069F8: 68A40F06
	v_readlane_b32 s82, v3, 30                                 // 0000000069FC: D2890052 00013D03
	s_lshr_b32 s61, s82, 24                                    // 000000006A04: 8F3D9852
	s_and_b32 s82, s82, 0xffffff                               // 000000006A08: 8652FF52 00FFFFFF
	s_mul_i32 s82, s82, s71                                    // 000000006A10: 92524752
	s_mul_i32 s61, s60, s61                                    // 000000006A14: 923D3D3C
	s_add_u32 s82, s82, s61                                    // 000000006A18: 80523D52
	v_mul_lo_u32 v6, v5, s82                                   // 000000006A1C: D2850006 0000A505
	v_readlane_b32 s82, v3, 31                                 // 000000006A24: D2890052 00013F03
	s_lshr_b32 s61, s82, 24                                    // 000000006A2C: 8F3D9852
	s_and_b32 s82, s82, 0xffffff                               // 000000006A30: 8652FF52 00FFFFFF
	s_mul_i32 s82, s82, s71                                    // 000000006A38: 92524752
	s_mul_i32 s61, s60, s61                                    // 000000006A3C: 923D3D3C
	s_add_u32 s82, s82, s61                                    // 000000006A40: 80523D52
	v_mul_lo_u32 v7, v4, s82                                   // 000000006A44: D2850007 0000A504
	v_add_u32_e32 v83, v6, v7                                  // 000000006A4C: 68A60F06
	v_readlane_b32 s82, v3, 32                                 // 000000006A50: D2890052 00014103
	s_lshr_b32 s61, s82, 24                                    // 000000006A58: 8F3D9852
	s_and_b32 s82, s82, 0xffffff                               // 000000006A5C: 8652FF52 00FFFFFF
	s_mul_i32 s82, s82, s71                                    // 000000006A64: 92524752
	s_mul_i32 s61, s60, s61                                    // 000000006A68: 923D3D3C
	s_add_u32 s82, s82, s61                                    // 000000006A6C: 80523D52
	v_mul_lo_u32 v6, v5, s82                                   // 000000006A70: D2850006 0000A505
	v_readlane_b32 s82, v3, 33                                 // 000000006A78: D2890052 00014303
	s_lshr_b32 s61, s82, 24                                    // 000000006A80: 8F3D9852
	s_and_b32 s82, s82, 0xffffff                               // 000000006A84: 8652FF52 00FFFFFF
	s_mul_i32 s82, s82, s71                                    // 000000006A8C: 92524752
	s_mul_i32 s61, s60, s61                                    // 000000006A90: 923D3D3C
	s_add_u32 s82, s82, s61                                    // 000000006A94: 80523D52
	v_mul_lo_u32 v7, v4, s82                                   // 000000006A98: D2850007 0000A504
	v_add_u32_e32 v84, v6, v7                                  // 000000006AA0: 68A80F06
	v_readlane_b32 s82, v3, 34                                 // 000000006AA4: D2890052 00014503
	s_lshr_b32 s61, s82, 24                                    // 000000006AAC: 8F3D9852
	s_and_b32 s82, s82, 0xffffff                               // 000000006AB0: 8652FF52 00FFFFFF
	s_mul_i32 s82, s82, s71                                    // 000000006AB8: 92524752
	s_mul_i32 s61, s60, s61                                    // 000000006ABC: 923D3D3C
	s_add_u32 s82, s82, s61                                    // 000000006AC0: 80523D52
	v_mul_lo_u32 v6, v5, s82                                   // 000000006AC4: D2850006 0000A505
	v_readlane_b32 s82, v3, 35                                 // 000000006ACC: D2890052 00014703
	s_lshr_b32 s61, s82, 24                                    // 000000006AD4: 8F3D9852
	s_and_b32 s82, s82, 0xffffff                               // 000000006AD8: 8652FF52 00FFFFFF
	s_mul_i32 s82, s82, s71                                    // 000000006AE0: 92524752
	s_mul_i32 s61, s60, s61                                    // 000000006AE4: 923D3D3C
	s_add_u32 s82, s82, s61                                    // 000000006AE8: 80523D52
	v_mul_lo_u32 v7, v4, s82                                   // 000000006AEC: D2850007 0000A504
	v_add_u32_e32 v85, v6, v7                                  // 000000006AF4: 68AA0F06
	v_readlane_b32 s82, v3, 36                                 // 000000006AF8: D2890052 00014903
	s_lshr_b32 s61, s82, 24                                    // 000000006B00: 8F3D9852
	s_and_b32 s82, s82, 0xffffff                               // 000000006B04: 8652FF52 00FFFFFF
	s_mul_i32 s82, s82, s71                                    // 000000006B0C: 92524752
	s_mul_i32 s61, s60, s61                                    // 000000006B10: 923D3D3C
	s_add_u32 s82, s82, s61                                    // 000000006B14: 80523D52
	v_mul_lo_u32 v6, v5, s82                                   // 000000006B18: D2850006 0000A505
	v_readlane_b32 s82, v3, 37                                 // 000000006B20: D2890052 00014B03
	s_lshr_b32 s61, s82, 24                                    // 000000006B28: 8F3D9852
	s_and_b32 s82, s82, 0xffffff                               // 000000006B2C: 8652FF52 00FFFFFF
	s_mul_i32 s82, s82, s71                                    // 000000006B34: 92524752
	s_mul_i32 s61, s60, s61                                    // 000000006B38: 923D3D3C
	s_add_u32 s82, s82, s61                                    // 000000006B3C: 80523D52
	v_mul_lo_u32 v7, v4, s82                                   // 000000006B40: D2850007 0000A504
	v_add_u32_e32 v86, v6, v7                                  // 000000006B48: 68AC0F06
	v_readlane_b32 s82, v3, 38                                 // 000000006B4C: D2890052 00014D03
	s_lshr_b32 s61, s82, 24                                    // 000000006B54: 8F3D9852
	s_and_b32 s82, s82, 0xffffff                               // 000000006B58: 8652FF52 00FFFFFF
	s_mul_i32 s82, s82, s71                                    // 000000006B60: 92524752
	s_mul_i32 s61, s60, s61                                    // 000000006B64: 923D3D3C
	s_add_u32 s82, s82, s61                                    // 000000006B68: 80523D52
	v_mul_lo_u32 v6, v5, s82                                   // 000000006B6C: D2850006 0000A505
	v_readlane_b32 s82, v3, 39                                 // 000000006B74: D2890052 00014F03
	s_lshr_b32 s61, s82, 24                                    // 000000006B7C: 8F3D9852
	s_and_b32 s82, s82, 0xffffff                               // 000000006B80: 8652FF52 00FFFFFF
	s_mul_i32 s82, s82, s71                                    // 000000006B88: 92524752
	s_mul_i32 s61, s60, s61                                    // 000000006B8C: 923D3D3C
	s_add_u32 s82, s82, s61                                    // 000000006B90: 80523D52
	v_mul_lo_u32 v7, v4, s82                                   // 000000006B94: D2850007 0000A504
	v_add_u32_e32 v87, v6, v7                                  // 000000006B9C: 68AE0F06
	v_and_b32_e32 v4, 31, v0                                   // 000000006BA0: 2608009F
	v_lshrrev_b32_e32 v4, 1, v4                                // 000000006BA4: 20080881
	s_cmp_eq_u32 s88, 0                                        // 000000006BA8: BF068058
	s_cselect_b32 s61, 2, 4                                    // 000000006BAC: 853D8482
	v_mul_lo_u32 v4, v4, s61                                   // 000000006BB0: D2850004 00007B04
	v_and_b32_e64 v5, v0, 1                                    // 000000006BB8: D1130005 00010300
	v_add_u32_e32 v4, v4, v5                                   // 000000006BC0: 68080B04
	v_lshlrev_b32_e32 v4, 2, v4                                // 000000006BC4: 24080882
	v_add_u32_e32 v68, v68, v4                                 // 000000006BC8: 68880944
	v_add_u32_e32 v69, v69, v4                                 // 000000006BCC: 688A0945
	v_add_u32_e32 v70, v70, v4                                 // 000000006BD0: 688C0946
	v_add_u32_e32 v71, v71, v4                                 // 000000006BD4: 688E0947
	v_add_u32_e32 v72, v72, v4                                 // 000000006BD8: 68900948
	v_add_u32_e32 v73, v73, v4                                 // 000000006BDC: 68920949
	v_add_u32_e32 v74, v74, v4                                 // 000000006BE0: 6894094A
	v_add_u32_e32 v75, v75, v4                                 // 000000006BE4: 6896094B
	v_add_u32_e32 v76, v76, v4                                 // 000000006BE8: 6898094C
	v_add_u32_e32 v77, v77, v4                                 // 000000006BEC: 689A094D
	v_add_u32_e32 v78, v78, v4                                 // 000000006BF0: 689C094E
	v_add_u32_e32 v79, v79, v4                                 // 000000006BF4: 689E094F
	v_add_u32_e32 v80, v80, v4                                 // 000000006BF8: 68A00950
	v_add_u32_e32 v81, v81, v4                                 // 000000006BFC: 68A20951
	v_add_u32_e32 v82, v82, v4                                 // 000000006C00: 68A40952
	v_add_u32_e32 v83, v83, v4                                 // 000000006C04: 68A60953
	v_add_u32_e32 v84, v84, v4                                 // 000000006C08: 68A80954
	v_add_u32_e32 v85, v85, v4                                 // 000000006C0C: 68AA0955
	v_add_u32_e32 v86, v86, v4                                 // 000000006C10: 68AC0956
	v_add_u32_e32 v87, v87, v4                                 // 000000006C14: 68AE0957
	s_waitcnt lgkmcnt(0)                                       // 000000006C18: BF8CC07F
	s_barrier                                                  // 000000006C1C: BF8A0000
	ds_read_b32 v92, v21                                       // 000000006C20: D86C0000 5C000015
	ds_read_b32 v93, v21 offset:64                             // 000000006C28: D86C0040 5D000015
	ds_read_b32 v96, v21 offset:2176                           // 000000006C30: D86C0880 60000015
	ds_read_b32 v97, v21 offset:2240                           // 000000006C38: D86C08C0 61000015
	ds_read_b32 v100, v21 offset:4352                          // 000000006C40: D86C1100 64000015
	ds_read_b32 v101, v21 offset:4416                          // 000000006C48: D86C1140 65000015
	ds_read_b32 v104, v21 offset:6528                          // 000000006C50: D86C1980 68000015
	ds_read_b32 v105, v21 offset:6592                          // 000000006C58: D86C19C0 69000015
	ds_read_b32 v108, v21 offset:8704                          // 000000006C60: D86C2200 6C000015
	ds_read_b32 v109, v21 offset:8768                          // 000000006C68: D86C2240 6D000015
	ds_read_b32 v112, v21 offset:10880                         // 000000006C70: D86C2A80 70000015
	ds_read_b32 v113, v21 offset:10944                         // 000000006C78: D86C2AC0 71000015
	ds_read_b32 v116, v21 offset:13056                         // 000000006C80: D86C3300 74000015
	ds_read_b32 v117, v21 offset:13120                         // 000000006C88: D86C3340 75000015
	ds_read_b32 v120, v21 offset:15232                         // 000000006C90: D86C3B80 78000015
	ds_read_b32 v121, v21 offset:15296                         // 000000006C98: D86C3BC0 79000015
	ds_read_b32 v124, v21 offset:17408                         // 000000006CA0: D86C4400 7C000015
	ds_read_b32 v125, v21 offset:17472                         // 000000006CA8: D86C4440 7D000015
	ds_read_b32 v128, v21 offset:19584                         // 000000006CB0: D86C4C80 80000015
	ds_read_b32 v129, v21 offset:19648                         // 000000006CB8: D86C4CC0 81000015
	s_waitcnt lgkmcnt(0)                                       // 000000006CC0: BF8CC07F
	s_mov_b32 s36, -1                                          // 000000006CC4: BEA400C1
	s_mov_b32 s37, -1                                          // 000000006CC8: BEA500C1
	v_mov_b32_e32 v7, 0                                        // 000000006CCC: 7E0E0280
	s_mov_b64 exec, s[36:37]                                   // 000000006CD0: BEFE0124
	v_mov_b32_e32 v6, v68                                      // 000000006CD4: 7E0C0344
	s_mov_b64 s[60:61], 0                                      // 000000006CD8: BEBC0180
	v_readlane_b32 s82, v3, 0                                  // 000000006CDC: D2890052 00010103
	s_and_b32 s82, s82, 0xffffff                               // 000000006CE4: 8652FF52 00FFFFFF
	s_cmp_lt_u32 s82, s66                                      // 000000006CEC: BF0A4252
	s_cselect_b32 s20, s36, s60                                // 000000006CF0: 85143C24
	v_readlane_b32 s82, v3, 1                                  // 000000006CF4: D2890052 00010303
	s_and_b32 s82, s82, 0xffffff                               // 000000006CFC: 8652FF52 00FFFFFF
	s_cmp_lt_u32 s82, s66                                      // 000000006D04: BF0A4252
	s_cselect_b32 s21, s36, s60                                // 000000006D08: 85153C24
	s_mov_b64 exec, s[20:21]                                   // 000000006D0C: BEFE0114
	global_atomic_add_f32 v6, v92, s[8:9]                      // 000000006D10: DD348000 00085C06
	s_mov_b64 exec, s[36:37]                                   // 000000006D18: BEFE0124
	v_mov_b32_e32 v6, v69                                      // 000000006D1C: 7E0C0345
	s_mov_b64 s[60:61], 0                                      // 000000006D20: BEBC0180
	v_readlane_b32 s82, v3, 2                                  // 000000006D24: D2890052 00010503
	s_and_b32 s82, s82, 0xffffff                               // 000000006D2C: 8652FF52 00FFFFFF
	s_cmp_lt_u32 s82, s66                                      // 000000006D34: BF0A4252
	s_cselect_b32 s20, s36, s60                                // 000000006D38: 85143C24
	v_readlane_b32 s82, v3, 3                                  // 000000006D3C: D2890052 00010703
	s_and_b32 s82, s82, 0xffffff                               // 000000006D44: 8652FF52 00FFFFFF
	s_cmp_lt_u32 s82, s66                                      // 000000006D4C: BF0A4252
	s_cselect_b32 s21, s36, s60                                // 000000006D50: 85153C24
	s_mov_b64 exec, s[20:21]                                   // 000000006D54: BEFE0114
	global_atomic_add_f32 v6, v93, s[8:9]                      // 000000006D58: DD348000 00085D06
	s_mov_b64 exec, s[36:37]                                   // 000000006D60: BEFE0124
	v_mov_b32_e32 v6, v70                                      // 000000006D64: 7E0C0346
	s_mov_b64 s[60:61], 0                                      // 000000006D68: BEBC0180
	v_readlane_b32 s82, v3, 4                                  // 000000006D6C: D2890052 00010903
	s_and_b32 s82, s82, 0xffffff                               // 000000006D74: 8652FF52 00FFFFFF
	s_cmp_lt_u32 s82, s66                                      // 000000006D7C: BF0A4252
	s_cselect_b32 s20, s36, s60                                // 000000006D80: 85143C24
	v_readlane_b32 s82, v3, 5                                  // 000000006D84: D2890052 00010B03
	s_and_b32 s82, s82, 0xffffff                               // 000000006D8C: 8652FF52 00FFFFFF
	s_cmp_lt_u32 s82, s66                                      // 000000006D94: BF0A4252
	s_cselect_b32 s21, s36, s60                                // 000000006D98: 85153C24
	s_mov_b64 exec, s[20:21]                                   // 000000006D9C: BEFE0114
	global_atomic_add_f32 v6, v96, s[8:9]                      // 000000006DA0: DD348000 00086006
	s_mov_b64 exec, s[36:37]                                   // 000000006DA8: BEFE0124
	v_mov_b32_e32 v6, v71                                      // 000000006DAC: 7E0C0347
	s_mov_b64 s[60:61], 0                                      // 000000006DB0: BEBC0180
	v_readlane_b32 s82, v3, 6                                  // 000000006DB4: D2890052 00010D03
	s_and_b32 s82, s82, 0xffffff                               // 000000006DBC: 8652FF52 00FFFFFF
	s_cmp_lt_u32 s82, s66                                      // 000000006DC4: BF0A4252
	s_cselect_b32 s20, s36, s60                                // 000000006DC8: 85143C24
	v_readlane_b32 s82, v3, 7                                  // 000000006DCC: D2890052 00010F03
	s_and_b32 s82, s82, 0xffffff                               // 000000006DD4: 8652FF52 00FFFFFF
	s_cmp_lt_u32 s82, s66                                      // 000000006DDC: BF0A4252
	s_cselect_b32 s21, s36, s60                                // 000000006DE0: 85153C24
	s_mov_b64 exec, s[20:21]                                   // 000000006DE4: BEFE0114
	global_atomic_add_f32 v6, v97, s[8:9]                      // 000000006DE8: DD348000 00086106
	s_mov_b64 exec, s[36:37]                                   // 000000006DF0: BEFE0124
	v_mov_b32_e32 v6, v72                                      // 000000006DF4: 7E0C0348
	s_mov_b64 s[60:61], 0                                      // 000000006DF8: BEBC0180
	v_readlane_b32 s82, v3, 8                                  // 000000006DFC: D2890052 00011103
	s_and_b32 s82, s82, 0xffffff                               // 000000006E04: 8652FF52 00FFFFFF
	s_cmp_lt_u32 s82, s66                                      // 000000006E0C: BF0A4252
	s_cselect_b32 s20, s36, s60                                // 000000006E10: 85143C24
	v_readlane_b32 s82, v3, 9                                  // 000000006E14: D2890052 00011303
	s_and_b32 s82, s82, 0xffffff                               // 000000006E1C: 8652FF52 00FFFFFF
	s_cmp_lt_u32 s82, s66                                      // 000000006E24: BF0A4252
	s_cselect_b32 s21, s36, s60                                // 000000006E28: 85153C24
	s_mov_b64 exec, s[20:21]                                   // 000000006E2C: BEFE0114
	global_atomic_add_f32 v6, v100, s[8:9]                     // 000000006E30: DD348000 00086406
	s_mov_b64 exec, s[36:37]                                   // 000000006E38: BEFE0124
	v_mov_b32_e32 v6, v73                                      // 000000006E3C: 7E0C0349
	s_mov_b64 s[60:61], 0                                      // 000000006E40: BEBC0180
	v_readlane_b32 s82, v3, 10                                 // 000000006E44: D2890052 00011503
	s_and_b32 s82, s82, 0xffffff                               // 000000006E4C: 8652FF52 00FFFFFF
	s_cmp_lt_u32 s82, s66                                      // 000000006E54: BF0A4252
	s_cselect_b32 s20, s36, s60                                // 000000006E58: 85143C24
	v_readlane_b32 s82, v3, 11                                 // 000000006E5C: D2890052 00011703
	s_and_b32 s82, s82, 0xffffff                               // 000000006E64: 8652FF52 00FFFFFF
	s_cmp_lt_u32 s82, s66                                      // 000000006E6C: BF0A4252
	s_cselect_b32 s21, s36, s60                                // 000000006E70: 85153C24
	s_mov_b64 exec, s[20:21]                                   // 000000006E74: BEFE0114
	global_atomic_add_f32 v6, v101, s[8:9]                     // 000000006E78: DD348000 00086506
	s_mov_b64 exec, s[36:37]                                   // 000000006E80: BEFE0124
	v_mov_b32_e32 v6, v74                                      // 000000006E84: 7E0C034A
	s_mov_b64 s[60:61], 0                                      // 000000006E88: BEBC0180
	v_readlane_b32 s82, v3, 12                                 // 000000006E8C: D2890052 00011903
	s_and_b32 s82, s82, 0xffffff                               // 000000006E94: 8652FF52 00FFFFFF
	s_cmp_lt_u32 s82, s66                                      // 000000006E9C: BF0A4252
	s_cselect_b32 s20, s36, s60                                // 000000006EA0: 85143C24
	v_readlane_b32 s82, v3, 13                                 // 000000006EA4: D2890052 00011B03
	s_and_b32 s82, s82, 0xffffff                               // 000000006EAC: 8652FF52 00FFFFFF
	s_cmp_lt_u32 s82, s66                                      // 000000006EB4: BF0A4252
	s_cselect_b32 s21, s36, s60                                // 000000006EB8: 85153C24
	s_mov_b64 exec, s[20:21]                                   // 000000006EBC: BEFE0114
	global_atomic_add_f32 v6, v104, s[8:9]                     // 000000006EC0: DD348000 00086806
	s_mov_b64 exec, s[36:37]                                   // 000000006EC8: BEFE0124
	v_mov_b32_e32 v6, v75                                      // 000000006ECC: 7E0C034B
	s_mov_b64 s[60:61], 0                                      // 000000006ED0: BEBC0180
	v_readlane_b32 s82, v3, 14                                 // 000000006ED4: D2890052 00011D03
	s_and_b32 s82, s82, 0xffffff                               // 000000006EDC: 8652FF52 00FFFFFF
	s_cmp_lt_u32 s82, s66                                      // 000000006EE4: BF0A4252
	s_cselect_b32 s20, s36, s60                                // 000000006EE8: 85143C24
	v_readlane_b32 s82, v3, 15                                 // 000000006EEC: D2890052 00011F03
	s_and_b32 s82, s82, 0xffffff                               // 000000006EF4: 8652FF52 00FFFFFF
	s_cmp_lt_u32 s82, s66                                      // 000000006EFC: BF0A4252
	s_cselect_b32 s21, s36, s60                                // 000000006F00: 85153C24
	s_mov_b64 exec, s[20:21]                                   // 000000006F04: BEFE0114
	global_atomic_add_f32 v6, v105, s[8:9]                     // 000000006F08: DD348000 00086906
	s_mov_b64 exec, s[36:37]                                   // 000000006F10: BEFE0124
	v_mov_b32_e32 v6, v76                                      // 000000006F14: 7E0C034C
	s_mov_b64 s[60:61], 0                                      // 000000006F18: BEBC0180
	v_readlane_b32 s82, v3, 16                                 // 000000006F1C: D2890052 00012103
	s_and_b32 s82, s82, 0xffffff                               // 000000006F24: 8652FF52 00FFFFFF
	s_cmp_lt_u32 s82, s66                                      // 000000006F2C: BF0A4252
	s_cselect_b32 s20, s36, s60                                // 000000006F30: 85143C24
	v_readlane_b32 s82, v3, 17                                 // 000000006F34: D2890052 00012303
	s_and_b32 s82, s82, 0xffffff                               // 000000006F3C: 8652FF52 00FFFFFF
	s_cmp_lt_u32 s82, s66                                      // 000000006F44: BF0A4252
	s_cselect_b32 s21, s36, s60                                // 000000006F48: 85153C24
	s_mov_b64 exec, s[20:21]                                   // 000000006F4C: BEFE0114
	global_atomic_add_f32 v6, v108, s[8:9]                     // 000000006F50: DD348000 00086C06
	s_mov_b64 exec, s[36:37]                                   // 000000006F58: BEFE0124
	v_mov_b32_e32 v6, v77                                      // 000000006F5C: 7E0C034D
	s_mov_b64 s[60:61], 0                                      // 000000006F60: BEBC0180
	v_readlane_b32 s82, v3, 18                                 // 000000006F64: D2890052 00012503
	s_and_b32 s82, s82, 0xffffff                               // 000000006F6C: 8652FF52 00FFFFFF
	s_cmp_lt_u32 s82, s66                                      // 000000006F74: BF0A4252
	s_cselect_b32 s20, s36, s60                                // 000000006F78: 85143C24
	v_readlane_b32 s82, v3, 19                                 // 000000006F7C: D2890052 00012703
	s_and_b32 s82, s82, 0xffffff                               // 000000006F84: 8652FF52 00FFFFFF
	s_cmp_lt_u32 s82, s66                                      // 000000006F8C: BF0A4252
	s_cselect_b32 s21, s36, s60                                // 000000006F90: 85153C24
	s_mov_b64 exec, s[20:21]                                   // 000000006F94: BEFE0114
	global_atomic_add_f32 v6, v109, s[8:9]                     // 000000006F98: DD348000 00086D06
	s_mov_b64 exec, s[36:37]                                   // 000000006FA0: BEFE0124
	v_mov_b32_e32 v6, v78                                      // 000000006FA4: 7E0C034E
	s_mov_b64 s[60:61], 0                                      // 000000006FA8: BEBC0180
	v_readlane_b32 s82, v3, 20                                 // 000000006FAC: D2890052 00012903
	s_and_b32 s82, s82, 0xffffff                               // 000000006FB4: 8652FF52 00FFFFFF
	s_cmp_lt_u32 s82, s66                                      // 000000006FBC: BF0A4252
	s_cselect_b32 s20, s36, s60                                // 000000006FC0: 85143C24
	v_readlane_b32 s82, v3, 21                                 // 000000006FC4: D2890052 00012B03
	s_and_b32 s82, s82, 0xffffff                               // 000000006FCC: 8652FF52 00FFFFFF
	s_cmp_lt_u32 s82, s66                                      // 000000006FD4: BF0A4252
	s_cselect_b32 s21, s36, s60                                // 000000006FD8: 85153C24
	s_mov_b64 exec, s[20:21]                                   // 000000006FDC: BEFE0114
	global_atomic_add_f32 v6, v112, s[8:9]                     // 000000006FE0: DD348000 00087006
	s_mov_b64 exec, s[36:37]                                   // 000000006FE8: BEFE0124
	v_mov_b32_e32 v6, v79                                      // 000000006FEC: 7E0C034F
	s_mov_b64 s[60:61], 0                                      // 000000006FF0: BEBC0180
	v_readlane_b32 s82, v3, 22                                 // 000000006FF4: D2890052 00012D03
	s_and_b32 s82, s82, 0xffffff                               // 000000006FFC: 8652FF52 00FFFFFF
	s_cmp_lt_u32 s82, s66                                      // 000000007004: BF0A4252
	s_cselect_b32 s20, s36, s60                                // 000000007008: 85143C24
	v_readlane_b32 s82, v3, 23                                 // 00000000700C: D2890052 00012F03
	s_and_b32 s82, s82, 0xffffff                               // 000000007014: 8652FF52 00FFFFFF
	s_cmp_lt_u32 s82, s66                                      // 00000000701C: BF0A4252
	s_cselect_b32 s21, s36, s60                                // 000000007020: 85153C24
	s_mov_b64 exec, s[20:21]                                   // 000000007024: BEFE0114
	global_atomic_add_f32 v6, v113, s[8:9]                     // 000000007028: DD348000 00087106
	s_mov_b64 exec, s[36:37]                                   // 000000007030: BEFE0124
	v_mov_b32_e32 v6, v80                                      // 000000007034: 7E0C0350
	s_mov_b64 s[60:61], 0                                      // 000000007038: BEBC0180
	v_readlane_b32 s82, v3, 24                                 // 00000000703C: D2890052 00013103
	s_and_b32 s82, s82, 0xffffff                               // 000000007044: 8652FF52 00FFFFFF
	s_cmp_lt_u32 s82, s66                                      // 00000000704C: BF0A4252
	s_cselect_b32 s20, s36, s60                                // 000000007050: 85143C24
	v_readlane_b32 s82, v3, 25                                 // 000000007054: D2890052 00013303
	s_and_b32 s82, s82, 0xffffff                               // 00000000705C: 8652FF52 00FFFFFF
	s_cmp_lt_u32 s82, s66                                      // 000000007064: BF0A4252
	s_cselect_b32 s21, s36, s60                                // 000000007068: 85153C24
	s_mov_b64 exec, s[20:21]                                   // 00000000706C: BEFE0114
	global_atomic_add_f32 v6, v116, s[8:9]                     // 000000007070: DD348000 00087406
	s_mov_b64 exec, s[36:37]                                   // 000000007078: BEFE0124
	v_mov_b32_e32 v6, v81                                      // 00000000707C: 7E0C0351
	s_mov_b64 s[60:61], 0                                      // 000000007080: BEBC0180
	v_readlane_b32 s82, v3, 26                                 // 000000007084: D2890052 00013503
	s_and_b32 s82, s82, 0xffffff                               // 00000000708C: 8652FF52 00FFFFFF
	s_cmp_lt_u32 s82, s66                                      // 000000007094: BF0A4252
	s_cselect_b32 s20, s36, s60                                // 000000007098: 85143C24
	v_readlane_b32 s82, v3, 27                                 // 00000000709C: D2890052 00013703
	s_and_b32 s82, s82, 0xffffff                               // 0000000070A4: 8652FF52 00FFFFFF
	s_cmp_lt_u32 s82, s66                                      // 0000000070AC: BF0A4252
	s_cselect_b32 s21, s36, s60                                // 0000000070B0: 85153C24
	s_mov_b64 exec, s[20:21]                                   // 0000000070B4: BEFE0114
	global_atomic_add_f32 v6, v117, s[8:9]                     // 0000000070B8: DD348000 00087506
	s_mov_b64 exec, s[36:37]                                   // 0000000070C0: BEFE0124
	v_mov_b32_e32 v6, v82                                      // 0000000070C4: 7E0C0352
	s_mov_b64 s[60:61], 0                                      // 0000000070C8: BEBC0180
	v_readlane_b32 s82, v3, 28                                 // 0000000070CC: D2890052 00013903
	s_and_b32 s82, s82, 0xffffff                               // 0000000070D4: 8652FF52 00FFFFFF
	s_cmp_lt_u32 s82, s66                                      // 0000000070DC: BF0A4252
	s_cselect_b32 s20, s36, s60                                // 0000000070E0: 85143C24
	v_readlane_b32 s82, v3, 29                                 // 0000000070E4: D2890052 00013B03
	s_and_b32 s82, s82, 0xffffff                               // 0000000070EC: 8652FF52 00FFFFFF
	s_cmp_lt_u32 s82, s66                                      // 0000000070F4: BF0A4252
	s_cselect_b32 s21, s36, s60                                // 0000000070F8: 85153C24
	s_mov_b64 exec, s[20:21]                                   // 0000000070FC: BEFE0114
	global_atomic_add_f32 v6, v120, s[8:9]                     // 000000007100: DD348000 00087806
	s_mov_b64 exec, s[36:37]                                   // 000000007108: BEFE0124
	v_mov_b32_e32 v6, v83                                      // 00000000710C: 7E0C0353
	s_mov_b64 s[60:61], 0                                      // 000000007110: BEBC0180
	v_readlane_b32 s82, v3, 30                                 // 000000007114: D2890052 00013D03
	s_and_b32 s82, s82, 0xffffff                               // 00000000711C: 8652FF52 00FFFFFF
	s_cmp_lt_u32 s82, s66                                      // 000000007124: BF0A4252
	s_cselect_b32 s20, s36, s60                                // 000000007128: 85143C24
	v_readlane_b32 s82, v3, 31                                 // 00000000712C: D2890052 00013F03
	s_and_b32 s82, s82, 0xffffff                               // 000000007134: 8652FF52 00FFFFFF
	s_cmp_lt_u32 s82, s66                                      // 00000000713C: BF0A4252
	s_cselect_b32 s21, s36, s60                                // 000000007140: 85153C24
	s_mov_b64 exec, s[20:21]                                   // 000000007144: BEFE0114
	global_atomic_add_f32 v6, v121, s[8:9]                     // 000000007148: DD348000 00087906
	s_mov_b64 exec, s[36:37]                                   // 000000007150: BEFE0124
	v_mov_b32_e32 v6, v84                                      // 000000007154: 7E0C0354
	s_mov_b64 s[60:61], 0                                      // 000000007158: BEBC0180
	v_readlane_b32 s82, v3, 32                                 // 00000000715C: D2890052 00014103
	s_and_b32 s82, s82, 0xffffff                               // 000000007164: 8652FF52 00FFFFFF
	s_cmp_lt_u32 s82, s66                                      // 00000000716C: BF0A4252
	s_cselect_b32 s20, s36, s60                                // 000000007170: 85143C24
	v_readlane_b32 s82, v3, 33                                 // 000000007174: D2890052 00014303
	s_and_b32 s82, s82, 0xffffff                               // 00000000717C: 8652FF52 00FFFFFF
	s_cmp_lt_u32 s82, s66                                      // 000000007184: BF0A4252
	s_cselect_b32 s21, s36, s60                                // 000000007188: 85153C24
	s_mov_b64 exec, s[20:21]                                   // 00000000718C: BEFE0114
	global_atomic_add_f32 v6, v124, s[8:9]                     // 000000007190: DD348000 00087C06
	s_mov_b64 exec, s[36:37]                                   // 000000007198: BEFE0124
	v_mov_b32_e32 v6, v85                                      // 00000000719C: 7E0C0355
	s_mov_b64 s[60:61], 0                                      // 0000000071A0: BEBC0180
	v_readlane_b32 s82, v3, 34                                 // 0000000071A4: D2890052 00014503
	s_and_b32 s82, s82, 0xffffff                               // 0000000071AC: 8652FF52 00FFFFFF
	s_cmp_lt_u32 s82, s66                                      // 0000000071B4: BF0A4252
	s_cselect_b32 s20, s36, s60                                // 0000000071B8: 85143C24
	v_readlane_b32 s82, v3, 35                                 // 0000000071BC: D2890052 00014703
	s_and_b32 s82, s82, 0xffffff                               // 0000000071C4: 8652FF52 00FFFFFF
	s_cmp_lt_u32 s82, s66                                      // 0000000071CC: BF0A4252
	s_cselect_b32 s21, s36, s60                                // 0000000071D0: 85153C24
	s_mov_b64 exec, s[20:21]                                   // 0000000071D4: BEFE0114
	global_atomic_add_f32 v6, v125, s[8:9]                     // 0000000071D8: DD348000 00087D06
	s_mov_b64 exec, s[36:37]                                   // 0000000071E0: BEFE0124
	v_mov_b32_e32 v6, v86                                      // 0000000071E4: 7E0C0356
	s_mov_b64 s[60:61], 0                                      // 0000000071E8: BEBC0180
	v_readlane_b32 s82, v3, 36                                 // 0000000071EC: D2890052 00014903
	s_and_b32 s82, s82, 0xffffff                               // 0000000071F4: 8652FF52 00FFFFFF
	s_cmp_lt_u32 s82, s66                                      // 0000000071FC: BF0A4252
	s_cselect_b32 s20, s36, s60                                // 000000007200: 85143C24
	v_readlane_b32 s82, v3, 37                                 // 000000007204: D2890052 00014B03
	s_and_b32 s82, s82, 0xffffff                               // 00000000720C: 8652FF52 00FFFFFF
	s_cmp_lt_u32 s82, s66                                      // 000000007214: BF0A4252
	s_cselect_b32 s21, s36, s60                                // 000000007218: 85153C24
	s_mov_b64 exec, s[20:21]                                   // 00000000721C: BEFE0114
	global_atomic_add_f32 v6, v128, s[8:9]                     // 000000007220: DD348000 00088006
	s_mov_b64 exec, s[36:37]                                   // 000000007228: BEFE0124
	v_mov_b32_e32 v6, v87                                      // 00000000722C: 7E0C0357
	s_mov_b64 s[60:61], 0                                      // 000000007230: BEBC0180
	v_readlane_b32 s82, v3, 38                                 // 000000007234: D2890052 00014D03
	s_and_b32 s82, s82, 0xffffff                               // 00000000723C: 8652FF52 00FFFFFF
	s_cmp_lt_u32 s82, s66                                      // 000000007244: BF0A4252
	s_cselect_b32 s20, s36, s60                                // 000000007248: 85143C24
	v_readlane_b32 s82, v3, 39                                 // 00000000724C: D2890052 00014F03
	s_and_b32 s82, s82, 0xffffff                               // 000000007254: 8652FF52 00FFFFFF
	s_cmp_lt_u32 s82, s66                                      // 00000000725C: BF0A4252
	s_cselect_b32 s21, s36, s60                                // 000000007260: 85153C24
	s_mov_b64 exec, s[20:21]                                   // 000000007264: BEFE0114
	global_atomic_add_f32 v6, v129, s[8:9]                     // 000000007268: DD348000 00088106
	s_mov_b64 exec, s[36:37]                                   // 000000007270: BEFE0124
	ds_write_b64 v20, v[94:95]                                 // 000000007274: D89A0000 00005E14
	ds_write_b64 v20, v[98:99] offset:2176                     // 00000000727C: D89A0880 00006214
	ds_write_b64 v20, v[102:103] offset:4352                   // 000000007284: D89A1100 00006614
	ds_write_b64 v20, v[106:107] offset:6528                   // 00000000728C: D89A1980 00006A14
	ds_write_b64 v20, v[110:111] offset:8704                   // 000000007294: D89A2200 00006E14
	ds_write_b64 v20, v[114:115] offset:10880                  // 00000000729C: D89A2A80 00007214
	ds_write_b64 v20, v[118:119] offset:13056                  // 0000000072A4: D89A3300 00007614
	ds_write_b64 v20, v[122:123] offset:15232                  // 0000000072AC: D89A3B80 00007A14
	ds_write_b64 v20, v[126:127] offset:17408                  // 0000000072B4: D89A4400 00007E14
	ds_write_b64 v20, v[130:131] offset:19584                  // 0000000072BC: D89A4C80 00008214
	s_waitcnt lgkmcnt(0)                                       // 0000000072C4: BF8CC07F
	s_barrier                                                  // 0000000072C8: BF8A0000
	ds_read_b32 v94, v21                                       // 0000000072CC: D86C0000 5E000015
	ds_read_b32 v95, v21 offset:64                             // 0000000072D4: D86C0040 5F000015
	ds_read_b32 v98, v21 offset:2176                           // 0000000072DC: D86C0880 62000015
	ds_read_b32 v99, v21 offset:2240                           // 0000000072E4: D86C08C0 63000015
	ds_read_b32 v102, v21 offset:4352                          // 0000000072EC: D86C1100 66000015
	ds_read_b32 v103, v21 offset:4416                          // 0000000072F4: D86C1140 67000015
	ds_read_b32 v106, v21 offset:6528                          // 0000000072FC: D86C1980 6A000015
	ds_read_b32 v107, v21 offset:6592                          // 000000007304: D86C19C0 6B000015
	ds_read_b32 v110, v21 offset:8704                          // 00000000730C: D86C2200 6E000015
	ds_read_b32 v111, v21 offset:8768                          // 000000007314: D86C2240 6F000015
	ds_read_b32 v114, v21 offset:10880                         // 00000000731C: D86C2A80 72000015
	ds_read_b32 v115, v21 offset:10944                         // 000000007324: D86C2AC0 73000015
	ds_read_b32 v118, v21 offset:13056                         // 00000000732C: D86C3300 76000015
	ds_read_b32 v119, v21 offset:13120                         // 000000007334: D86C3340 77000015
	ds_read_b32 v122, v21 offset:15232                         // 00000000733C: D86C3B80 7A000015
	ds_read_b32 v123, v21 offset:15296                         // 000000007344: D86C3BC0 7B000015
	ds_read_b32 v126, v21 offset:17408                         // 00000000734C: D86C4400 7E000015
	ds_read_b32 v127, v21 offset:17472                         // 000000007354: D86C4440 7F000015
	ds_read_b32 v130, v21 offset:19584                         // 00000000735C: D86C4C80 82000015
	ds_read_b32 v131, v21 offset:19648                         // 000000007364: D86C4CC0 83000015
	s_waitcnt lgkmcnt(0)                                       // 00000000736C: BF8CC07F
	v_mov_b32_e32 v7, 0                                        // 000000007370: 7E0E0280
	s_mov_b64 exec, s[36:37]                                   // 000000007374: BEFE0124
	v_mov_b32_e32 v6, v68                                      // 000000007378: 7E0C0344
	s_mov_b64 s[60:61], 0                                      // 00000000737C: BEBC0180
	v_readlane_b32 s82, v3, 0                                  // 000000007380: D2890052 00010103
	s_and_b32 s82, s82, 0xffffff                               // 000000007388: 8652FF52 00FFFFFF
	s_cmp_lt_u32 s82, s66                                      // 000000007390: BF0A4252
	s_cselect_b32 s20, s36, s60                                // 000000007394: 85143C24
	v_readlane_b32 s82, v3, 1                                  // 000000007398: D2890052 00010303
	s_and_b32 s82, s82, 0xffffff                               // 0000000073A0: 8652FF52 00FFFFFF
	s_cmp_lt_u32 s82, s66                                      // 0000000073A8: BF0A4252
	s_cselect_b32 s21, s36, s60                                // 0000000073AC: 85153C24
	s_mov_b64 exec, s[20:21]                                   // 0000000073B0: BEFE0114
	global_atomic_add_f32 v6, v94, s[8:9] offset:8             // 0000000073B4: DD348008 00085E06
	s_mov_b64 exec, s[36:37]                                   // 0000000073BC: BEFE0124
	v_mov_b32_e32 v6, v69                                      // 0000000073C0: 7E0C0345
	s_mov_b64 s[60:61], 0                                      // 0000000073C4: BEBC0180
	v_readlane_b32 s82, v3, 2                                  // 0000000073C8: D2890052 00010503
	s_and_b32 s82, s82, 0xffffff                               // 0000000073D0: 8652FF52 00FFFFFF
	s_cmp_lt_u32 s82, s66                                      // 0000000073D8: BF0A4252
	s_cselect_b32 s20, s36, s60                                // 0000000073DC: 85143C24
	v_readlane_b32 s82, v3, 3                                  // 0000000073E0: D2890052 00010703
	s_and_b32 s82, s82, 0xffffff                               // 0000000073E8: 8652FF52 00FFFFFF
	s_cmp_lt_u32 s82, s66                                      // 0000000073F0: BF0A4252
	s_cselect_b32 s21, s36, s60                                // 0000000073F4: 85153C24
	s_mov_b64 exec, s[20:21]                                   // 0000000073F8: BEFE0114
	global_atomic_add_f32 v6, v95, s[8:9] offset:8             // 0000000073FC: DD348008 00085F06
	s_mov_b64 exec, s[36:37]                                   // 000000007404: BEFE0124
	v_mov_b32_e32 v6, v70                                      // 000000007408: 7E0C0346
	s_mov_b64 s[60:61], 0                                      // 00000000740C: BEBC0180
	v_readlane_b32 s82, v3, 4                                  // 000000007410: D2890052 00010903
	s_and_b32 s82, s82, 0xffffff                               // 000000007418: 8652FF52 00FFFFFF
	s_cmp_lt_u32 s82, s66                                      // 000000007420: BF0A4252
	s_cselect_b32 s20, s36, s60                                // 000000007424: 85143C24
	v_readlane_b32 s82, v3, 5                                  // 000000007428: D2890052 00010B03
	s_and_b32 s82, s82, 0xffffff                               // 000000007430: 8652FF52 00FFFFFF
	s_cmp_lt_u32 s82, s66                                      // 000000007438: BF0A4252
	s_cselect_b32 s21, s36, s60                                // 00000000743C: 85153C24
	s_mov_b64 exec, s[20:21]                                   // 000000007440: BEFE0114
	global_atomic_add_f32 v6, v98, s[8:9] offset:8             // 000000007444: DD348008 00086206
	s_mov_b64 exec, s[36:37]                                   // 00000000744C: BEFE0124
	v_mov_b32_e32 v6, v71                                      // 000000007450: 7E0C0347
	s_mov_b64 s[60:61], 0                                      // 000000007454: BEBC0180
	v_readlane_b32 s82, v3, 6                                  // 000000007458: D2890052 00010D03
	s_and_b32 s82, s82, 0xffffff                               // 000000007460: 8652FF52 00FFFFFF
	s_cmp_lt_u32 s82, s66                                      // 000000007468: BF0A4252
	s_cselect_b32 s20, s36, s60                                // 00000000746C: 85143C24
	v_readlane_b32 s82, v3, 7                                  // 000000007470: D2890052 00010F03
	s_and_b32 s82, s82, 0xffffff                               // 000000007478: 8652FF52 00FFFFFF
	s_cmp_lt_u32 s82, s66                                      // 000000007480: BF0A4252
	s_cselect_b32 s21, s36, s60                                // 000000007484: 85153C24
	s_mov_b64 exec, s[20:21]                                   // 000000007488: BEFE0114
	global_atomic_add_f32 v6, v99, s[8:9] offset:8             // 00000000748C: DD348008 00086306
	s_mov_b64 exec, s[36:37]                                   // 000000007494: BEFE0124
	v_mov_b32_e32 v6, v72                                      // 000000007498: 7E0C0348
	s_mov_b64 s[60:61], 0                                      // 00000000749C: BEBC0180
	v_readlane_b32 s82, v3, 8                                  // 0000000074A0: D2890052 00011103
	s_and_b32 s82, s82, 0xffffff                               // 0000000074A8: 8652FF52 00FFFFFF
	s_cmp_lt_u32 s82, s66                                      // 0000000074B0: BF0A4252
	s_cselect_b32 s20, s36, s60                                // 0000000074B4: 85143C24
	v_readlane_b32 s82, v3, 9                                  // 0000000074B8: D2890052 00011303
	s_and_b32 s82, s82, 0xffffff                               // 0000000074C0: 8652FF52 00FFFFFF
	s_cmp_lt_u32 s82, s66                                      // 0000000074C8: BF0A4252
	s_cselect_b32 s21, s36, s60                                // 0000000074CC: 85153C24
	s_mov_b64 exec, s[20:21]                                   // 0000000074D0: BEFE0114
	global_atomic_add_f32 v6, v102, s[8:9] offset:8            // 0000000074D4: DD348008 00086606
	s_mov_b64 exec, s[36:37]                                   // 0000000074DC: BEFE0124
	v_mov_b32_e32 v6, v73                                      // 0000000074E0: 7E0C0349
	s_mov_b64 s[60:61], 0                                      // 0000000074E4: BEBC0180
	v_readlane_b32 s82, v3, 10                                 // 0000000074E8: D2890052 00011503
	s_and_b32 s82, s82, 0xffffff                               // 0000000074F0: 8652FF52 00FFFFFF
	s_cmp_lt_u32 s82, s66                                      // 0000000074F8: BF0A4252
	s_cselect_b32 s20, s36, s60                                // 0000000074FC: 85143C24
	v_readlane_b32 s82, v3, 11                                 // 000000007500: D2890052 00011703
	s_and_b32 s82, s82, 0xffffff                               // 000000007508: 8652FF52 00FFFFFF
	s_cmp_lt_u32 s82, s66                                      // 000000007510: BF0A4252
	s_cselect_b32 s21, s36, s60                                // 000000007514: 85153C24
	s_mov_b64 exec, s[20:21]                                   // 000000007518: BEFE0114
	global_atomic_add_f32 v6, v103, s[8:9] offset:8            // 00000000751C: DD348008 00086706
	s_mov_b64 exec, s[36:37]                                   // 000000007524: BEFE0124
	v_mov_b32_e32 v6, v74                                      // 000000007528: 7E0C034A
	s_mov_b64 s[60:61], 0                                      // 00000000752C: BEBC0180
	v_readlane_b32 s82, v3, 12                                 // 000000007530: D2890052 00011903
	s_and_b32 s82, s82, 0xffffff                               // 000000007538: 8652FF52 00FFFFFF
	s_cmp_lt_u32 s82, s66                                      // 000000007540: BF0A4252
	s_cselect_b32 s20, s36, s60                                // 000000007544: 85143C24
	v_readlane_b32 s82, v3, 13                                 // 000000007548: D2890052 00011B03
	s_and_b32 s82, s82, 0xffffff                               // 000000007550: 8652FF52 00FFFFFF
	s_cmp_lt_u32 s82, s66                                      // 000000007558: BF0A4252
	s_cselect_b32 s21, s36, s60                                // 00000000755C: 85153C24
	s_mov_b64 exec, s[20:21]                                   // 000000007560: BEFE0114
	global_atomic_add_f32 v6, v106, s[8:9] offset:8            // 000000007564: DD348008 00086A06
	s_mov_b64 exec, s[36:37]                                   // 00000000756C: BEFE0124
	v_mov_b32_e32 v6, v75                                      // 000000007570: 7E0C034B
	s_mov_b64 s[60:61], 0                                      // 000000007574: BEBC0180
	v_readlane_b32 s82, v3, 14                                 // 000000007578: D2890052 00011D03
	s_and_b32 s82, s82, 0xffffff                               // 000000007580: 8652FF52 00FFFFFF
	s_cmp_lt_u32 s82, s66                                      // 000000007588: BF0A4252
	s_cselect_b32 s20, s36, s60                                // 00000000758C: 85143C24
	v_readlane_b32 s82, v3, 15                                 // 000000007590: D2890052 00011F03
	s_and_b32 s82, s82, 0xffffff                               // 000000007598: 8652FF52 00FFFFFF
	s_cmp_lt_u32 s82, s66                                      // 0000000075A0: BF0A4252
	s_cselect_b32 s21, s36, s60                                // 0000000075A4: 85153C24
	s_mov_b64 exec, s[20:21]                                   // 0000000075A8: BEFE0114
	global_atomic_add_f32 v6, v107, s[8:9] offset:8            // 0000000075AC: DD348008 00086B06
	s_mov_b64 exec, s[36:37]                                   // 0000000075B4: BEFE0124
	v_mov_b32_e32 v6, v76                                      // 0000000075B8: 7E0C034C
	s_mov_b64 s[60:61], 0                                      // 0000000075BC: BEBC0180
	v_readlane_b32 s82, v3, 16                                 // 0000000075C0: D2890052 00012103
	s_and_b32 s82, s82, 0xffffff                               // 0000000075C8: 8652FF52 00FFFFFF
	s_cmp_lt_u32 s82, s66                                      // 0000000075D0: BF0A4252
	s_cselect_b32 s20, s36, s60                                // 0000000075D4: 85143C24
	v_readlane_b32 s82, v3, 17                                 // 0000000075D8: D2890052 00012303
	s_and_b32 s82, s82, 0xffffff                               // 0000000075E0: 8652FF52 00FFFFFF
	s_cmp_lt_u32 s82, s66                                      // 0000000075E8: BF0A4252
	s_cselect_b32 s21, s36, s60                                // 0000000075EC: 85153C24
	s_mov_b64 exec, s[20:21]                                   // 0000000075F0: BEFE0114
	global_atomic_add_f32 v6, v110, s[8:9] offset:8            // 0000000075F4: DD348008 00086E06
	s_mov_b64 exec, s[36:37]                                   // 0000000075FC: BEFE0124
	v_mov_b32_e32 v6, v77                                      // 000000007600: 7E0C034D
	s_mov_b64 s[60:61], 0                                      // 000000007604: BEBC0180
	v_readlane_b32 s82, v3, 18                                 // 000000007608: D2890052 00012503
	s_and_b32 s82, s82, 0xffffff                               // 000000007610: 8652FF52 00FFFFFF
	s_cmp_lt_u32 s82, s66                                      // 000000007618: BF0A4252
	s_cselect_b32 s20, s36, s60                                // 00000000761C: 85143C24
	v_readlane_b32 s82, v3, 19                                 // 000000007620: D2890052 00012703
	s_and_b32 s82, s82, 0xffffff                               // 000000007628: 8652FF52 00FFFFFF
	s_cmp_lt_u32 s82, s66                                      // 000000007630: BF0A4252
	s_cselect_b32 s21, s36, s60                                // 000000007634: 85153C24
	s_mov_b64 exec, s[20:21]                                   // 000000007638: BEFE0114
	global_atomic_add_f32 v6, v111, s[8:9] offset:8            // 00000000763C: DD348008 00086F06
	s_mov_b64 exec, s[36:37]                                   // 000000007644: BEFE0124
	v_mov_b32_e32 v6, v78                                      // 000000007648: 7E0C034E
	s_mov_b64 s[60:61], 0                                      // 00000000764C: BEBC0180
	v_readlane_b32 s82, v3, 20                                 // 000000007650: D2890052 00012903
	s_and_b32 s82, s82, 0xffffff                               // 000000007658: 8652FF52 00FFFFFF
	s_cmp_lt_u32 s82, s66                                      // 000000007660: BF0A4252
	s_cselect_b32 s20, s36, s60                                // 000000007664: 85143C24
	v_readlane_b32 s82, v3, 21                                 // 000000007668: D2890052 00012B03
	s_and_b32 s82, s82, 0xffffff                               // 000000007670: 8652FF52 00FFFFFF
	s_cmp_lt_u32 s82, s66                                      // 000000007678: BF0A4252
	s_cselect_b32 s21, s36, s60                                // 00000000767C: 85153C24
	s_mov_b64 exec, s[20:21]                                   // 000000007680: BEFE0114
	global_atomic_add_f32 v6, v114, s[8:9] offset:8            // 000000007684: DD348008 00087206
	s_mov_b64 exec, s[36:37]                                   // 00000000768C: BEFE0124
	v_mov_b32_e32 v6, v79                                      // 000000007690: 7E0C034F
	s_mov_b64 s[60:61], 0                                      // 000000007694: BEBC0180
	v_readlane_b32 s82, v3, 22                                 // 000000007698: D2890052 00012D03
	s_and_b32 s82, s82, 0xffffff                               // 0000000076A0: 8652FF52 00FFFFFF
	s_cmp_lt_u32 s82, s66                                      // 0000000076A8: BF0A4252
	s_cselect_b32 s20, s36, s60                                // 0000000076AC: 85143C24
	v_readlane_b32 s82, v3, 23                                 // 0000000076B0: D2890052 00012F03
	s_and_b32 s82, s82, 0xffffff                               // 0000000076B8: 8652FF52 00FFFFFF
	s_cmp_lt_u32 s82, s66                                      // 0000000076C0: BF0A4252
	s_cselect_b32 s21, s36, s60                                // 0000000076C4: 85153C24
	s_mov_b64 exec, s[20:21]                                   // 0000000076C8: BEFE0114
	global_atomic_add_f32 v6, v115, s[8:9] offset:8            // 0000000076CC: DD348008 00087306
	s_mov_b64 exec, s[36:37]                                   // 0000000076D4: BEFE0124
	v_mov_b32_e32 v6, v80                                      // 0000000076D8: 7E0C0350
	s_mov_b64 s[60:61], 0                                      // 0000000076DC: BEBC0180
	v_readlane_b32 s82, v3, 24                                 // 0000000076E0: D2890052 00013103
	s_and_b32 s82, s82, 0xffffff                               // 0000000076E8: 8652FF52 00FFFFFF
	s_cmp_lt_u32 s82, s66                                      // 0000000076F0: BF0A4252
	s_cselect_b32 s20, s36, s60                                // 0000000076F4: 85143C24
	v_readlane_b32 s82, v3, 25                                 // 0000000076F8: D2890052 00013303
	s_and_b32 s82, s82, 0xffffff                               // 000000007700: 8652FF52 00FFFFFF
	s_cmp_lt_u32 s82, s66                                      // 000000007708: BF0A4252
	s_cselect_b32 s21, s36, s60                                // 00000000770C: 85153C24
	s_mov_b64 exec, s[20:21]                                   // 000000007710: BEFE0114
	global_atomic_add_f32 v6, v118, s[8:9] offset:8            // 000000007714: DD348008 00087606
	s_mov_b64 exec, s[36:37]                                   // 00000000771C: BEFE0124
	v_mov_b32_e32 v6, v81                                      // 000000007720: 7E0C0351
	s_mov_b64 s[60:61], 0                                      // 000000007724: BEBC0180
	v_readlane_b32 s82, v3, 26                                 // 000000007728: D2890052 00013503
	s_and_b32 s82, s82, 0xffffff                               // 000000007730: 8652FF52 00FFFFFF
	s_cmp_lt_u32 s82, s66                                      // 000000007738: BF0A4252
	s_cselect_b32 s20, s36, s60                                // 00000000773C: 85143C24
	v_readlane_b32 s82, v3, 27                                 // 000000007740: D2890052 00013703
	s_and_b32 s82, s82, 0xffffff                               // 000000007748: 8652FF52 00FFFFFF
	s_cmp_lt_u32 s82, s66                                      // 000000007750: BF0A4252
	s_cselect_b32 s21, s36, s60                                // 000000007754: 85153C24
	s_mov_b64 exec, s[20:21]                                   // 000000007758: BEFE0114
	global_atomic_add_f32 v6, v119, s[8:9] offset:8            // 00000000775C: DD348008 00087706
	s_mov_b64 exec, s[36:37]                                   // 000000007764: BEFE0124
	v_mov_b32_e32 v6, v82                                      // 000000007768: 7E0C0352
	s_mov_b64 s[60:61], 0                                      // 00000000776C: BEBC0180
	v_readlane_b32 s82, v3, 28                                 // 000000007770: D2890052 00013903
	s_and_b32 s82, s82, 0xffffff                               // 000000007778: 8652FF52 00FFFFFF
	s_cmp_lt_u32 s82, s66                                      // 000000007780: BF0A4252
	s_cselect_b32 s20, s36, s60                                // 000000007784: 85143C24
	v_readlane_b32 s82, v3, 29                                 // 000000007788: D2890052 00013B03
	s_and_b32 s82, s82, 0xffffff                               // 000000007790: 8652FF52 00FFFFFF
	s_cmp_lt_u32 s82, s66                                      // 000000007798: BF0A4252
	s_cselect_b32 s21, s36, s60                                // 00000000779C: 85153C24
	s_mov_b64 exec, s[20:21]                                   // 0000000077A0: BEFE0114
	global_atomic_add_f32 v6, v122, s[8:9] offset:8            // 0000000077A4: DD348008 00087A06
	s_mov_b64 exec, s[36:37]                                   // 0000000077AC: BEFE0124
	v_mov_b32_e32 v6, v83                                      // 0000000077B0: 7E0C0353
	s_mov_b64 s[60:61], 0                                      // 0000000077B4: BEBC0180
	v_readlane_b32 s82, v3, 30                                 // 0000000077B8: D2890052 00013D03
	s_and_b32 s82, s82, 0xffffff                               // 0000000077C0: 8652FF52 00FFFFFF
	s_cmp_lt_u32 s82, s66                                      // 0000000077C8: BF0A4252
	s_cselect_b32 s20, s36, s60                                // 0000000077CC: 85143C24
	v_readlane_b32 s82, v3, 31                                 // 0000000077D0: D2890052 00013F03
	s_and_b32 s82, s82, 0xffffff                               // 0000000077D8: 8652FF52 00FFFFFF
	s_cmp_lt_u32 s82, s66                                      // 0000000077E0: BF0A4252
	s_cselect_b32 s21, s36, s60                                // 0000000077E4: 85153C24
	s_mov_b64 exec, s[20:21]                                   // 0000000077E8: BEFE0114
	global_atomic_add_f32 v6, v123, s[8:9] offset:8            // 0000000077EC: DD348008 00087B06
	s_mov_b64 exec, s[36:37]                                   // 0000000077F4: BEFE0124
	v_mov_b32_e32 v6, v84                                      // 0000000077F8: 7E0C0354
	s_mov_b64 s[60:61], 0                                      // 0000000077FC: BEBC0180
	v_readlane_b32 s82, v3, 32                                 // 000000007800: D2890052 00014103
	s_and_b32 s82, s82, 0xffffff                               // 000000007808: 8652FF52 00FFFFFF
	s_cmp_lt_u32 s82, s66                                      // 000000007810: BF0A4252
	s_cselect_b32 s20, s36, s60                                // 000000007814: 85143C24
	v_readlane_b32 s82, v3, 33                                 // 000000007818: D2890052 00014303
	s_and_b32 s82, s82, 0xffffff                               // 000000007820: 8652FF52 00FFFFFF
	s_cmp_lt_u32 s82, s66                                      // 000000007828: BF0A4252
	s_cselect_b32 s21, s36, s60                                // 00000000782C: 85153C24
	s_mov_b64 exec, s[20:21]                                   // 000000007830: BEFE0114
	global_atomic_add_f32 v6, v126, s[8:9] offset:8            // 000000007834: DD348008 00087E06
	s_mov_b64 exec, s[36:37]                                   // 00000000783C: BEFE0124
	v_mov_b32_e32 v6, v85                                      // 000000007840: 7E0C0355
	s_mov_b64 s[60:61], 0                                      // 000000007844: BEBC0180
	v_readlane_b32 s82, v3, 34                                 // 000000007848: D2890052 00014503
	s_and_b32 s82, s82, 0xffffff                               // 000000007850: 8652FF52 00FFFFFF
	s_cmp_lt_u32 s82, s66                                      // 000000007858: BF0A4252
	s_cselect_b32 s20, s36, s60                                // 00000000785C: 85143C24
	v_readlane_b32 s82, v3, 35                                 // 000000007860: D2890052 00014703
	s_and_b32 s82, s82, 0xffffff                               // 000000007868: 8652FF52 00FFFFFF
	s_cmp_lt_u32 s82, s66                                      // 000000007870: BF0A4252
	s_cselect_b32 s21, s36, s60                                // 000000007874: 85153C24
	s_mov_b64 exec, s[20:21]                                   // 000000007878: BEFE0114
	global_atomic_add_f32 v6, v127, s[8:9] offset:8            // 00000000787C: DD348008 00087F06
	s_mov_b64 exec, s[36:37]                                   // 000000007884: BEFE0124
	v_mov_b32_e32 v6, v86                                      // 000000007888: 7E0C0356
	s_mov_b64 s[60:61], 0                                      // 00000000788C: BEBC0180
	v_readlane_b32 s82, v3, 36                                 // 000000007890: D2890052 00014903
	s_and_b32 s82, s82, 0xffffff                               // 000000007898: 8652FF52 00FFFFFF
	s_cmp_lt_u32 s82, s66                                      // 0000000078A0: BF0A4252
	s_cselect_b32 s20, s36, s60                                // 0000000078A4: 85143C24
	v_readlane_b32 s82, v3, 37                                 // 0000000078A8: D2890052 00014B03
	s_and_b32 s82, s82, 0xffffff                               // 0000000078B0: 8652FF52 00FFFFFF
	s_cmp_lt_u32 s82, s66                                      // 0000000078B8: BF0A4252
	s_cselect_b32 s21, s36, s60                                // 0000000078BC: 85153C24
	s_mov_b64 exec, s[20:21]                                   // 0000000078C0: BEFE0114
	global_atomic_add_f32 v6, v130, s[8:9] offset:8            // 0000000078C4: DD348008 00088206
	s_mov_b64 exec, s[36:37]                                   // 0000000078CC: BEFE0124
	v_mov_b32_e32 v6, v87                                      // 0000000078D0: 7E0C0357
	s_mov_b64 s[60:61], 0                                      // 0000000078D4: BEBC0180
	v_readlane_b32 s82, v3, 38                                 // 0000000078D8: D2890052 00014D03
	s_and_b32 s82, s82, 0xffffff                               // 0000000078E0: 8652FF52 00FFFFFF
	s_cmp_lt_u32 s82, s66                                      // 0000000078E8: BF0A4252
	s_cselect_b32 s20, s36, s60                                // 0000000078EC: 85143C24
	v_readlane_b32 s82, v3, 39                                 // 0000000078F0: D2890052 00014F03
	s_and_b32 s82, s82, 0xffffff                               // 0000000078F8: 8652FF52 00FFFFFF
	s_cmp_lt_u32 s82, s66                                      // 000000007900: BF0A4252
	s_cselect_b32 s21, s36, s60                                // 000000007904: 85153C24
	s_mov_b64 exec, s[20:21]                                   // 000000007908: BEFE0114
	global_atomic_add_f32 v6, v131, s[8:9] offset:8            // 00000000790C: DD348008 00088306
	s_mov_b64 exec, s[36:37]                                   // 000000007914: BEFE0124
	ds_write_b64 v20, v[132:133]                               // 000000007918: D89A0000 00008414
	ds_write_b64 v20, v[136:137] offset:2176                   // 000000007920: D89A0880 00008814
	ds_write_b64 v20, v[140:141] offset:4352                   // 000000007928: D89A1100 00008C14
	ds_write_b64 v20, v[144:145] offset:6528                   // 000000007930: D89A1980 00009014
	ds_write_b64 v20, v[148:149] offset:8704                   // 000000007938: D89A2200 00009414
	ds_write_b64 v20, v[152:153] offset:10880                  // 000000007940: D89A2A80 00009814
	ds_write_b64 v20, v[156:157] offset:13056                  // 000000007948: D89A3300 00009C14
	ds_write_b64 v20, v[160:161] offset:15232                  // 000000007950: D89A3B80 0000A014
	ds_write_b64 v20, v[164:165] offset:17408                  // 000000007958: D89A4400 0000A414
	ds_write_b64 v20, v[168:169] offset:19584                  // 000000007960: D89A4C80 0000A814
	s_waitcnt lgkmcnt(0)                                       // 000000007968: BF8CC07F
	s_barrier                                                  // 00000000796C: BF8A0000
	ds_read_b32 v132, v21                                      // 000000007970: D86C0000 84000015
	ds_read_b32 v133, v21 offset:64                            // 000000007978: D86C0040 85000015
	ds_read_b32 v136, v21 offset:2176                          // 000000007980: D86C0880 88000015
	ds_read_b32 v137, v21 offset:2240                          // 000000007988: D86C08C0 89000015
	ds_read_b32 v140, v21 offset:4352                          // 000000007990: D86C1100 8C000015
	ds_read_b32 v141, v21 offset:4416                          // 000000007998: D86C1140 8D000015
	ds_read_b32 v144, v21 offset:6528                          // 0000000079A0: D86C1980 90000015
	ds_read_b32 v145, v21 offset:6592                          // 0000000079A8: D86C19C0 91000015
	ds_read_b32 v148, v21 offset:8704                          // 0000000079B0: D86C2200 94000015
	ds_read_b32 v149, v21 offset:8768                          // 0000000079B8: D86C2240 95000015
	ds_read_b32 v152, v21 offset:10880                         // 0000000079C0: D86C2A80 98000015
	ds_read_b32 v153, v21 offset:10944                         // 0000000079C8: D86C2AC0 99000015
	ds_read_b32 v156, v21 offset:13056                         // 0000000079D0: D86C3300 9C000015
	ds_read_b32 v157, v21 offset:13120                         // 0000000079D8: D86C3340 9D000015
	ds_read_b32 v160, v21 offset:15232                         // 0000000079E0: D86C3B80 A0000015
	ds_read_b32 v161, v21 offset:15296                         // 0000000079E8: D86C3BC0 A1000015
	ds_read_b32 v164, v21 offset:17408                         // 0000000079F0: D86C4400 A4000015
	ds_read_b32 v165, v21 offset:17472                         // 0000000079F8: D86C4440 A5000015
	ds_read_b32 v168, v21 offset:19584                         // 000000007A00: D86C4C80 A8000015
	ds_read_b32 v169, v21 offset:19648                         // 000000007A08: D86C4CC0 A9000015
	s_mul_i32 s60, s65, 4                                      // 000000007A10: 923C8441
	s_add_u32 s8, s60, s8                                      // 000000007A14: 8008083C
	s_addc_u32 s9, 0, s9                                       // 000000007A18: 82090980
	s_waitcnt lgkmcnt(0)                                       // 000000007A1C: BF8CC07F
	v_mov_b32_e32 v7, 0                                        // 000000007A20: 7E0E0280
	s_mov_b64 exec, s[36:37]                                   // 000000007A24: BEFE0124
	v_mov_b32_e32 v6, v68                                      // 000000007A28: 7E0C0344
	s_mov_b64 s[60:61], 0                                      // 000000007A2C: BEBC0180
	v_readlane_b32 s82, v3, 0                                  // 000000007A30: D2890052 00010103
	s_and_b32 s82, s82, 0xffffff                               // 000000007A38: 8652FF52 00FFFFFF
	s_cmp_lt_u32 s82, s66                                      // 000000007A40: BF0A4252
	s_cselect_b32 s20, s36, s60                                // 000000007A44: 85143C24
	v_readlane_b32 s82, v3, 1                                  // 000000007A48: D2890052 00010303
	s_and_b32 s82, s82, 0xffffff                               // 000000007A50: 8652FF52 00FFFFFF
	s_cmp_lt_u32 s82, s66                                      // 000000007A58: BF0A4252
	s_cselect_b32 s21, s36, s60                                // 000000007A5C: 85153C24
	s_mov_b64 exec, s[20:21]                                   // 000000007A60: BEFE0114
	global_atomic_add_f32 v6, v132, s[8:9]                     // 000000007A64: DD348000 00088406
	s_mov_b64 exec, s[36:37]                                   // 000000007A6C: BEFE0124
	v_mov_b32_e32 v6, v69                                      // 000000007A70: 7E0C0345
	s_mov_b64 s[60:61], 0                                      // 000000007A74: BEBC0180
	v_readlane_b32 s82, v3, 2                                  // 000000007A78: D2890052 00010503
	s_and_b32 s82, s82, 0xffffff                               // 000000007A80: 8652FF52 00FFFFFF
	s_cmp_lt_u32 s82, s66                                      // 000000007A88: BF0A4252
	s_cselect_b32 s20, s36, s60                                // 000000007A8C: 85143C24
	v_readlane_b32 s82, v3, 3                                  // 000000007A90: D2890052 00010703
	s_and_b32 s82, s82, 0xffffff                               // 000000007A98: 8652FF52 00FFFFFF
	s_cmp_lt_u32 s82, s66                                      // 000000007AA0: BF0A4252
	s_cselect_b32 s21, s36, s60                                // 000000007AA4: 85153C24
	s_mov_b64 exec, s[20:21]                                   // 000000007AA8: BEFE0114
	global_atomic_add_f32 v6, v133, s[8:9]                     // 000000007AAC: DD348000 00088506
	s_mov_b64 exec, s[36:37]                                   // 000000007AB4: BEFE0124
	v_mov_b32_e32 v6, v70                                      // 000000007AB8: 7E0C0346
	s_mov_b64 s[60:61], 0                                      // 000000007ABC: BEBC0180
	v_readlane_b32 s82, v3, 4                                  // 000000007AC0: D2890052 00010903
	s_and_b32 s82, s82, 0xffffff                               // 000000007AC8: 8652FF52 00FFFFFF
	s_cmp_lt_u32 s82, s66                                      // 000000007AD0: BF0A4252
	s_cselect_b32 s20, s36, s60                                // 000000007AD4: 85143C24
	v_readlane_b32 s82, v3, 5                                  // 000000007AD8: D2890052 00010B03
	s_and_b32 s82, s82, 0xffffff                               // 000000007AE0: 8652FF52 00FFFFFF
	s_cmp_lt_u32 s82, s66                                      // 000000007AE8: BF0A4252
	s_cselect_b32 s21, s36, s60                                // 000000007AEC: 85153C24
	s_mov_b64 exec, s[20:21]                                   // 000000007AF0: BEFE0114
	global_atomic_add_f32 v6, v136, s[8:9]                     // 000000007AF4: DD348000 00088806
	s_mov_b64 exec, s[36:37]                                   // 000000007AFC: BEFE0124
	v_mov_b32_e32 v6, v71                                      // 000000007B00: 7E0C0347
	s_mov_b64 s[60:61], 0                                      // 000000007B04: BEBC0180
	v_readlane_b32 s82, v3, 6                                  // 000000007B08: D2890052 00010D03
	s_and_b32 s82, s82, 0xffffff                               // 000000007B10: 8652FF52 00FFFFFF
	s_cmp_lt_u32 s82, s66                                      // 000000007B18: BF0A4252
	s_cselect_b32 s20, s36, s60                                // 000000007B1C: 85143C24
	v_readlane_b32 s82, v3, 7                                  // 000000007B20: D2890052 00010F03
	s_and_b32 s82, s82, 0xffffff                               // 000000007B28: 8652FF52 00FFFFFF
	s_cmp_lt_u32 s82, s66                                      // 000000007B30: BF0A4252
	s_cselect_b32 s21, s36, s60                                // 000000007B34: 85153C24
	s_mov_b64 exec, s[20:21]                                   // 000000007B38: BEFE0114
	global_atomic_add_f32 v6, v137, s[8:9]                     // 000000007B3C: DD348000 00088906
	s_mov_b64 exec, s[36:37]                                   // 000000007B44: BEFE0124
	v_mov_b32_e32 v6, v72                                      // 000000007B48: 7E0C0348
	s_mov_b64 s[60:61], 0                                      // 000000007B4C: BEBC0180
	v_readlane_b32 s82, v3, 8                                  // 000000007B50: D2890052 00011103
	s_and_b32 s82, s82, 0xffffff                               // 000000007B58: 8652FF52 00FFFFFF
	s_cmp_lt_u32 s82, s66                                      // 000000007B60: BF0A4252
	s_cselect_b32 s20, s36, s60                                // 000000007B64: 85143C24
	v_readlane_b32 s82, v3, 9                                  // 000000007B68: D2890052 00011303
	s_and_b32 s82, s82, 0xffffff                               // 000000007B70: 8652FF52 00FFFFFF
	s_cmp_lt_u32 s82, s66                                      // 000000007B78: BF0A4252
	s_cselect_b32 s21, s36, s60                                // 000000007B7C: 85153C24
	s_mov_b64 exec, s[20:21]                                   // 000000007B80: BEFE0114
	global_atomic_add_f32 v6, v140, s[8:9]                     // 000000007B84: DD348000 00088C06
	s_mov_b64 exec, s[36:37]                                   // 000000007B8C: BEFE0124
	v_mov_b32_e32 v6, v73                                      // 000000007B90: 7E0C0349
	s_mov_b64 s[60:61], 0                                      // 000000007B94: BEBC0180
	v_readlane_b32 s82, v3, 10                                 // 000000007B98: D2890052 00011503
	s_and_b32 s82, s82, 0xffffff                               // 000000007BA0: 8652FF52 00FFFFFF
	s_cmp_lt_u32 s82, s66                                      // 000000007BA8: BF0A4252
	s_cselect_b32 s20, s36, s60                                // 000000007BAC: 85143C24
	v_readlane_b32 s82, v3, 11                                 // 000000007BB0: D2890052 00011703
	s_and_b32 s82, s82, 0xffffff                               // 000000007BB8: 8652FF52 00FFFFFF
	s_cmp_lt_u32 s82, s66                                      // 000000007BC0: BF0A4252
	s_cselect_b32 s21, s36, s60                                // 000000007BC4: 85153C24
	s_mov_b64 exec, s[20:21]                                   // 000000007BC8: BEFE0114
	global_atomic_add_f32 v6, v141, s[8:9]                     // 000000007BCC: DD348000 00088D06
	s_mov_b64 exec, s[36:37]                                   // 000000007BD4: BEFE0124
	v_mov_b32_e32 v6, v74                                      // 000000007BD8: 7E0C034A
	s_mov_b64 s[60:61], 0                                      // 000000007BDC: BEBC0180
	v_readlane_b32 s82, v3, 12                                 // 000000007BE0: D2890052 00011903
	s_and_b32 s82, s82, 0xffffff                               // 000000007BE8: 8652FF52 00FFFFFF
	s_cmp_lt_u32 s82, s66                                      // 000000007BF0: BF0A4252
	s_cselect_b32 s20, s36, s60                                // 000000007BF4: 85143C24
	v_readlane_b32 s82, v3, 13                                 // 000000007BF8: D2890052 00011B03
	s_and_b32 s82, s82, 0xffffff                               // 000000007C00: 8652FF52 00FFFFFF
	s_cmp_lt_u32 s82, s66                                      // 000000007C08: BF0A4252
	s_cselect_b32 s21, s36, s60                                // 000000007C0C: 85153C24
	s_mov_b64 exec, s[20:21]                                   // 000000007C10: BEFE0114
	global_atomic_add_f32 v6, v144, s[8:9]                     // 000000007C14: DD348000 00089006
	s_mov_b64 exec, s[36:37]                                   // 000000007C1C: BEFE0124
	v_mov_b32_e32 v6, v75                                      // 000000007C20: 7E0C034B
	s_mov_b64 s[60:61], 0                                      // 000000007C24: BEBC0180
	v_readlane_b32 s82, v3, 14                                 // 000000007C28: D2890052 00011D03
	s_and_b32 s82, s82, 0xffffff                               // 000000007C30: 8652FF52 00FFFFFF
	s_cmp_lt_u32 s82, s66                                      // 000000007C38: BF0A4252
	s_cselect_b32 s20, s36, s60                                // 000000007C3C: 85143C24
	v_readlane_b32 s82, v3, 15                                 // 000000007C40: D2890052 00011F03
	s_and_b32 s82, s82, 0xffffff                               // 000000007C48: 8652FF52 00FFFFFF
	s_cmp_lt_u32 s82, s66                                      // 000000007C50: BF0A4252
	s_cselect_b32 s21, s36, s60                                // 000000007C54: 85153C24
	s_mov_b64 exec, s[20:21]                                   // 000000007C58: BEFE0114
	global_atomic_add_f32 v6, v145, s[8:9]                     // 000000007C5C: DD348000 00089106
	s_mov_b64 exec, s[36:37]                                   // 000000007C64: BEFE0124
	v_mov_b32_e32 v6, v76                                      // 000000007C68: 7E0C034C
	s_mov_b64 s[60:61], 0                                      // 000000007C6C: BEBC0180
	v_readlane_b32 s82, v3, 16                                 // 000000007C70: D2890052 00012103
	s_and_b32 s82, s82, 0xffffff                               // 000000007C78: 8652FF52 00FFFFFF
	s_cmp_lt_u32 s82, s66                                      // 000000007C80: BF0A4252
	s_cselect_b32 s20, s36, s60                                // 000000007C84: 85143C24
	v_readlane_b32 s82, v3, 17                                 // 000000007C88: D2890052 00012303
	s_and_b32 s82, s82, 0xffffff                               // 000000007C90: 8652FF52 00FFFFFF
	s_cmp_lt_u32 s82, s66                                      // 000000007C98: BF0A4252
	s_cselect_b32 s21, s36, s60                                // 000000007C9C: 85153C24
	s_mov_b64 exec, s[20:21]                                   // 000000007CA0: BEFE0114
	global_atomic_add_f32 v6, v148, s[8:9]                     // 000000007CA4: DD348000 00089406
	s_mov_b64 exec, s[36:37]                                   // 000000007CAC: BEFE0124
	v_mov_b32_e32 v6, v77                                      // 000000007CB0: 7E0C034D
	s_mov_b64 s[60:61], 0                                      // 000000007CB4: BEBC0180
	v_readlane_b32 s82, v3, 18                                 // 000000007CB8: D2890052 00012503
	s_and_b32 s82, s82, 0xffffff                               // 000000007CC0: 8652FF52 00FFFFFF
	s_cmp_lt_u32 s82, s66                                      // 000000007CC8: BF0A4252
	s_cselect_b32 s20, s36, s60                                // 000000007CCC: 85143C24
	v_readlane_b32 s82, v3, 19                                 // 000000007CD0: D2890052 00012703
	s_and_b32 s82, s82, 0xffffff                               // 000000007CD8: 8652FF52 00FFFFFF
	s_cmp_lt_u32 s82, s66                                      // 000000007CE0: BF0A4252
	s_cselect_b32 s21, s36, s60                                // 000000007CE4: 85153C24
	s_mov_b64 exec, s[20:21]                                   // 000000007CE8: BEFE0114
	global_atomic_add_f32 v6, v149, s[8:9]                     // 000000007CEC: DD348000 00089506
	s_mov_b64 exec, s[36:37]                                   // 000000007CF4: BEFE0124
	v_mov_b32_e32 v6, v78                                      // 000000007CF8: 7E0C034E
	s_mov_b64 s[60:61], 0                                      // 000000007CFC: BEBC0180
	v_readlane_b32 s82, v3, 20                                 // 000000007D00: D2890052 00012903
	s_and_b32 s82, s82, 0xffffff                               // 000000007D08: 8652FF52 00FFFFFF
	s_cmp_lt_u32 s82, s66                                      // 000000007D10: BF0A4252
	s_cselect_b32 s20, s36, s60                                // 000000007D14: 85143C24
	v_readlane_b32 s82, v3, 21                                 // 000000007D18: D2890052 00012B03
	s_and_b32 s82, s82, 0xffffff                               // 000000007D20: 8652FF52 00FFFFFF
	s_cmp_lt_u32 s82, s66                                      // 000000007D28: BF0A4252
	s_cselect_b32 s21, s36, s60                                // 000000007D2C: 85153C24
	s_mov_b64 exec, s[20:21]                                   // 000000007D30: BEFE0114
	global_atomic_add_f32 v6, v152, s[8:9]                     // 000000007D34: DD348000 00089806
	s_mov_b64 exec, s[36:37]                                   // 000000007D3C: BEFE0124
	v_mov_b32_e32 v6, v79                                      // 000000007D40: 7E0C034F
	s_mov_b64 s[60:61], 0                                      // 000000007D44: BEBC0180
	v_readlane_b32 s82, v3, 22                                 // 000000007D48: D2890052 00012D03
	s_and_b32 s82, s82, 0xffffff                               // 000000007D50: 8652FF52 00FFFFFF
	s_cmp_lt_u32 s82, s66                                      // 000000007D58: BF0A4252
	s_cselect_b32 s20, s36, s60                                // 000000007D5C: 85143C24
	v_readlane_b32 s82, v3, 23                                 // 000000007D60: D2890052 00012F03
	s_and_b32 s82, s82, 0xffffff                               // 000000007D68: 8652FF52 00FFFFFF
	s_cmp_lt_u32 s82, s66                                      // 000000007D70: BF0A4252
	s_cselect_b32 s21, s36, s60                                // 000000007D74: 85153C24
	s_mov_b64 exec, s[20:21]                                   // 000000007D78: BEFE0114
	global_atomic_add_f32 v6, v153, s[8:9]                     // 000000007D7C: DD348000 00089906
	s_mov_b64 exec, s[36:37]                                   // 000000007D84: BEFE0124
	v_mov_b32_e32 v6, v80                                      // 000000007D88: 7E0C0350
	s_mov_b64 s[60:61], 0                                      // 000000007D8C: BEBC0180
	v_readlane_b32 s82, v3, 24                                 // 000000007D90: D2890052 00013103
	s_and_b32 s82, s82, 0xffffff                               // 000000007D98: 8652FF52 00FFFFFF
	s_cmp_lt_u32 s82, s66                                      // 000000007DA0: BF0A4252
	s_cselect_b32 s20, s36, s60                                // 000000007DA4: 85143C24
	v_readlane_b32 s82, v3, 25                                 // 000000007DA8: D2890052 00013303
	s_and_b32 s82, s82, 0xffffff                               // 000000007DB0: 8652FF52 00FFFFFF
	s_cmp_lt_u32 s82, s66                                      // 000000007DB8: BF0A4252
	s_cselect_b32 s21, s36, s60                                // 000000007DBC: 85153C24
	s_mov_b64 exec, s[20:21]                                   // 000000007DC0: BEFE0114
	global_atomic_add_f32 v6, v156, s[8:9]                     // 000000007DC4: DD348000 00089C06
	s_mov_b64 exec, s[36:37]                                   // 000000007DCC: BEFE0124
	v_mov_b32_e32 v6, v81                                      // 000000007DD0: 7E0C0351
	s_mov_b64 s[60:61], 0                                      // 000000007DD4: BEBC0180
	v_readlane_b32 s82, v3, 26                                 // 000000007DD8: D2890052 00013503
	s_and_b32 s82, s82, 0xffffff                               // 000000007DE0: 8652FF52 00FFFFFF
	s_cmp_lt_u32 s82, s66                                      // 000000007DE8: BF0A4252
	s_cselect_b32 s20, s36, s60                                // 000000007DEC: 85143C24
	v_readlane_b32 s82, v3, 27                                 // 000000007DF0: D2890052 00013703
	s_and_b32 s82, s82, 0xffffff                               // 000000007DF8: 8652FF52 00FFFFFF
	s_cmp_lt_u32 s82, s66                                      // 000000007E00: BF0A4252
	s_cselect_b32 s21, s36, s60                                // 000000007E04: 85153C24
	s_mov_b64 exec, s[20:21]                                   // 000000007E08: BEFE0114
	global_atomic_add_f32 v6, v157, s[8:9]                     // 000000007E0C: DD348000 00089D06
	s_mov_b64 exec, s[36:37]                                   // 000000007E14: BEFE0124
	v_mov_b32_e32 v6, v82                                      // 000000007E18: 7E0C0352
	s_mov_b64 s[60:61], 0                                      // 000000007E1C: BEBC0180
	v_readlane_b32 s82, v3, 28                                 // 000000007E20: D2890052 00013903
	s_and_b32 s82, s82, 0xffffff                               // 000000007E28: 8652FF52 00FFFFFF
	s_cmp_lt_u32 s82, s66                                      // 000000007E30: BF0A4252
	s_cselect_b32 s20, s36, s60                                // 000000007E34: 85143C24
	v_readlane_b32 s82, v3, 29                                 // 000000007E38: D2890052 00013B03
	s_and_b32 s82, s82, 0xffffff                               // 000000007E40: 8652FF52 00FFFFFF
	s_cmp_lt_u32 s82, s66                                      // 000000007E48: BF0A4252
	s_cselect_b32 s21, s36, s60                                // 000000007E4C: 85153C24
	s_mov_b64 exec, s[20:21]                                   // 000000007E50: BEFE0114
	global_atomic_add_f32 v6, v160, s[8:9]                     // 000000007E54: DD348000 0008A006
	s_mov_b64 exec, s[36:37]                                   // 000000007E5C: BEFE0124
	v_mov_b32_e32 v6, v83                                      // 000000007E60: 7E0C0353
	s_mov_b64 s[60:61], 0                                      // 000000007E64: BEBC0180
	v_readlane_b32 s82, v3, 30                                 // 000000007E68: D2890052 00013D03
	s_and_b32 s82, s82, 0xffffff                               // 000000007E70: 8652FF52 00FFFFFF
	s_cmp_lt_u32 s82, s66                                      // 000000007E78: BF0A4252
	s_cselect_b32 s20, s36, s60                                // 000000007E7C: 85143C24
	v_readlane_b32 s82, v3, 31                                 // 000000007E80: D2890052 00013F03
	s_and_b32 s82, s82, 0xffffff                               // 000000007E88: 8652FF52 00FFFFFF
	s_cmp_lt_u32 s82, s66                                      // 000000007E90: BF0A4252
	s_cselect_b32 s21, s36, s60                                // 000000007E94: 85153C24
	s_mov_b64 exec, s[20:21]                                   // 000000007E98: BEFE0114
	global_atomic_add_f32 v6, v161, s[8:9]                     // 000000007E9C: DD348000 0008A106
	s_mov_b64 exec, s[36:37]                                   // 000000007EA4: BEFE0124
	v_mov_b32_e32 v6, v84                                      // 000000007EA8: 7E0C0354
	s_mov_b64 s[60:61], 0                                      // 000000007EAC: BEBC0180
	v_readlane_b32 s82, v3, 32                                 // 000000007EB0: D2890052 00014103
	s_and_b32 s82, s82, 0xffffff                               // 000000007EB8: 8652FF52 00FFFFFF
	s_cmp_lt_u32 s82, s66                                      // 000000007EC0: BF0A4252
	s_cselect_b32 s20, s36, s60                                // 000000007EC4: 85143C24
	v_readlane_b32 s82, v3, 33                                 // 000000007EC8: D2890052 00014303
	s_and_b32 s82, s82, 0xffffff                               // 000000007ED0: 8652FF52 00FFFFFF
	s_cmp_lt_u32 s82, s66                                      // 000000007ED8: BF0A4252
	s_cselect_b32 s21, s36, s60                                // 000000007EDC: 85153C24
	s_mov_b64 exec, s[20:21]                                   // 000000007EE0: BEFE0114
	global_atomic_add_f32 v6, v164, s[8:9]                     // 000000007EE4: DD348000 0008A406
	s_mov_b64 exec, s[36:37]                                   // 000000007EEC: BEFE0124
	v_mov_b32_e32 v6, v85                                      // 000000007EF0: 7E0C0355
	s_mov_b64 s[60:61], 0                                      // 000000007EF4: BEBC0180
	v_readlane_b32 s82, v3, 34                                 // 000000007EF8: D2890052 00014503
	s_and_b32 s82, s82, 0xffffff                               // 000000007F00: 8652FF52 00FFFFFF
	s_cmp_lt_u32 s82, s66                                      // 000000007F08: BF0A4252
	s_cselect_b32 s20, s36, s60                                // 000000007F0C: 85143C24
	v_readlane_b32 s82, v3, 35                                 // 000000007F10: D2890052 00014703
	s_and_b32 s82, s82, 0xffffff                               // 000000007F18: 8652FF52 00FFFFFF
	s_cmp_lt_u32 s82, s66                                      // 000000007F20: BF0A4252
	s_cselect_b32 s21, s36, s60                                // 000000007F24: 85153C24
	s_mov_b64 exec, s[20:21]                                   // 000000007F28: BEFE0114
	global_atomic_add_f32 v6, v165, s[8:9]                     // 000000007F2C: DD348000 0008A506
	s_mov_b64 exec, s[36:37]                                   // 000000007F34: BEFE0124
	v_mov_b32_e32 v6, v86                                      // 000000007F38: 7E0C0356
	s_mov_b64 s[60:61], 0                                      // 000000007F3C: BEBC0180
	v_readlane_b32 s82, v3, 36                                 // 000000007F40: D2890052 00014903
	s_and_b32 s82, s82, 0xffffff                               // 000000007F48: 8652FF52 00FFFFFF
	s_cmp_lt_u32 s82, s66                                      // 000000007F50: BF0A4252
	s_cselect_b32 s20, s36, s60                                // 000000007F54: 85143C24
	v_readlane_b32 s82, v3, 37                                 // 000000007F58: D2890052 00014B03
	s_and_b32 s82, s82, 0xffffff                               // 000000007F60: 8652FF52 00FFFFFF
	s_cmp_lt_u32 s82, s66                                      // 000000007F68: BF0A4252
	s_cselect_b32 s21, s36, s60                                // 000000007F6C: 85153C24
	s_mov_b64 exec, s[20:21]                                   // 000000007F70: BEFE0114
	global_atomic_add_f32 v6, v168, s[8:9]                     // 000000007F74: DD348000 0008A806
	s_mov_b64 exec, s[36:37]                                   // 000000007F7C: BEFE0124
	v_mov_b32_e32 v6, v87                                      // 000000007F80: 7E0C0357
	s_mov_b64 s[60:61], 0                                      // 000000007F84: BEBC0180
	v_readlane_b32 s82, v3, 38                                 // 000000007F88: D2890052 00014D03
	s_and_b32 s82, s82, 0xffffff                               // 000000007F90: 8652FF52 00FFFFFF
	s_cmp_lt_u32 s82, s66                                      // 000000007F98: BF0A4252
	s_cselect_b32 s20, s36, s60                                // 000000007F9C: 85143C24
	v_readlane_b32 s82, v3, 39                                 // 000000007FA0: D2890052 00014F03
	s_and_b32 s82, s82, 0xffffff                               // 000000007FA8: 8652FF52 00FFFFFF
	s_cmp_lt_u32 s82, s66                                      // 000000007FB0: BF0A4252
	s_cselect_b32 s21, s36, s60                                // 000000007FB4: 85153C24
	s_mov_b64 exec, s[20:21]                                   // 000000007FB8: BEFE0114
	global_atomic_add_f32 v6, v169, s[8:9]                     // 000000007FBC: DD348000 0008A906
	s_mov_b64 exec, s[36:37]                                   // 000000007FC4: BEFE0124
	ds_write_b64 v20, v[134:135]                               // 000000007FC8: D89A0000 00008614
	ds_write_b64 v20, v[138:139] offset:2176                   // 000000007FD0: D89A0880 00008A14
	ds_write_b64 v20, v[142:143] offset:4352                   // 000000007FD8: D89A1100 00008E14
	ds_write_b64 v20, v[146:147] offset:6528                   // 000000007FE0: D89A1980 00009214
	ds_write_b64 v20, v[150:151] offset:8704                   // 000000007FE8: D89A2200 00009614
	ds_write_b64 v20, v[154:155] offset:10880                  // 000000007FF0: D89A2A80 00009A14
	ds_write_b64 v20, v[158:159] offset:13056                  // 000000007FF8: D89A3300 00009E14
	ds_write_b64 v20, v[162:163] offset:15232                  // 000000008000: D89A3B80 0000A214
	ds_write_b64 v20, v[166:167] offset:17408                  // 000000008008: D89A4400 0000A614
	ds_write_b64 v20, v[170:171] offset:19584                  // 000000008010: D89A4C80 0000AA14
	s_waitcnt lgkmcnt(0)                                       // 000000008018: BF8CC07F
	s_barrier                                                  // 00000000801C: BF8A0000
	ds_read_b32 v134, v21                                      // 000000008020: D86C0000 86000015
	ds_read_b32 v135, v21 offset:64                            // 000000008028: D86C0040 87000015
	ds_read_b32 v138, v21 offset:2176                          // 000000008030: D86C0880 8A000015
	ds_read_b32 v139, v21 offset:2240                          // 000000008038: D86C08C0 8B000015
	ds_read_b32 v142, v21 offset:4352                          // 000000008040: D86C1100 8E000015
	ds_read_b32 v143, v21 offset:4416                          // 000000008048: D86C1140 8F000015
	ds_read_b32 v146, v21 offset:6528                          // 000000008050: D86C1980 92000015
	ds_read_b32 v147, v21 offset:6592                          // 000000008058: D86C19C0 93000015
	ds_read_b32 v150, v21 offset:8704                          // 000000008060: D86C2200 96000015
	ds_read_b32 v151, v21 offset:8768                          // 000000008068: D86C2240 97000015
	ds_read_b32 v154, v21 offset:10880                         // 000000008070: D86C2A80 9A000015
	ds_read_b32 v155, v21 offset:10944                         // 000000008078: D86C2AC0 9B000015
	ds_read_b32 v158, v21 offset:13056                         // 000000008080: D86C3300 9E000015
	ds_read_b32 v159, v21 offset:13120                         // 000000008088: D86C3340 9F000015
	ds_read_b32 v162, v21 offset:15232                         // 000000008090: D86C3B80 A2000015
	ds_read_b32 v163, v21 offset:15296                         // 000000008098: D86C3BC0 A3000015
	ds_read_b32 v166, v21 offset:17408                         // 0000000080A0: D86C4400 A6000015
	ds_read_b32 v167, v21 offset:17472                         // 0000000080A8: D86C4440 A7000015
	ds_read_b32 v170, v21 offset:19584                         // 0000000080B0: D86C4C80 AA000015
	ds_read_b32 v171, v21 offset:19648                         // 0000000080B8: D86C4CC0 AB000015
	s_waitcnt lgkmcnt(0)                                       // 0000000080C0: BF8CC07F
	v_mov_b32_e32 v7, 0                                        // 0000000080C4: 7E0E0280
	s_mov_b64 exec, s[36:37]                                   // 0000000080C8: BEFE0124
	v_mov_b32_e32 v6, v68                                      // 0000000080CC: 7E0C0344
	s_mov_b64 s[60:61], 0                                      // 0000000080D0: BEBC0180
	v_readlane_b32 s82, v3, 0                                  // 0000000080D4: D2890052 00010103
	s_and_b32 s82, s82, 0xffffff                               // 0000000080DC: 8652FF52 00FFFFFF
	s_cmp_lt_u32 s82, s66                                      // 0000000080E4: BF0A4252
	s_cselect_b32 s20, s36, s60                                // 0000000080E8: 85143C24
	v_readlane_b32 s82, v3, 1                                  // 0000000080EC: D2890052 00010303
	s_and_b32 s82, s82, 0xffffff                               // 0000000080F4: 8652FF52 00FFFFFF
	s_cmp_lt_u32 s82, s66                                      // 0000000080FC: BF0A4252
	s_cselect_b32 s21, s36, s60                                // 000000008100: 85153C24
	s_mov_b64 exec, s[20:21]                                   // 000000008104: BEFE0114
	global_atomic_add_f32 v6, v134, s[8:9] offset:8            // 000000008108: DD348008 00088606
	s_mov_b64 exec, s[36:37]                                   // 000000008110: BEFE0124
	v_mov_b32_e32 v6, v69                                      // 000000008114: 7E0C0345
	s_mov_b64 s[60:61], 0                                      // 000000008118: BEBC0180
	v_readlane_b32 s82, v3, 2                                  // 00000000811C: D2890052 00010503
	s_and_b32 s82, s82, 0xffffff                               // 000000008124: 8652FF52 00FFFFFF
	s_cmp_lt_u32 s82, s66                                      // 00000000812C: BF0A4252
	s_cselect_b32 s20, s36, s60                                // 000000008130: 85143C24
	v_readlane_b32 s82, v3, 3                                  // 000000008134: D2890052 00010703
	s_and_b32 s82, s82, 0xffffff                               // 00000000813C: 8652FF52 00FFFFFF
	s_cmp_lt_u32 s82, s66                                      // 000000008144: BF0A4252
	s_cselect_b32 s21, s36, s60                                // 000000008148: 85153C24
	s_mov_b64 exec, s[20:21]                                   // 00000000814C: BEFE0114
	global_atomic_add_f32 v6, v135, s[8:9] offset:8            // 000000008150: DD348008 00088706
	s_mov_b64 exec, s[36:37]                                   // 000000008158: BEFE0124
	v_mov_b32_e32 v6, v70                                      // 00000000815C: 7E0C0346
	s_mov_b64 s[60:61], 0                                      // 000000008160: BEBC0180
	v_readlane_b32 s82, v3, 4                                  // 000000008164: D2890052 00010903
	s_and_b32 s82, s82, 0xffffff                               // 00000000816C: 8652FF52 00FFFFFF
	s_cmp_lt_u32 s82, s66                                      // 000000008174: BF0A4252
	s_cselect_b32 s20, s36, s60                                // 000000008178: 85143C24
	v_readlane_b32 s82, v3, 5                                  // 00000000817C: D2890052 00010B03
	s_and_b32 s82, s82, 0xffffff                               // 000000008184: 8652FF52 00FFFFFF
	s_cmp_lt_u32 s82, s66                                      // 00000000818C: BF0A4252
	s_cselect_b32 s21, s36, s60                                // 000000008190: 85153C24
	s_mov_b64 exec, s[20:21]                                   // 000000008194: BEFE0114
	global_atomic_add_f32 v6, v138, s[8:9] offset:8            // 000000008198: DD348008 00088A06
	s_mov_b64 exec, s[36:37]                                   // 0000000081A0: BEFE0124
	v_mov_b32_e32 v6, v71                                      // 0000000081A4: 7E0C0347
	s_mov_b64 s[60:61], 0                                      // 0000000081A8: BEBC0180
	v_readlane_b32 s82, v3, 6                                  // 0000000081AC: D2890052 00010D03
	s_and_b32 s82, s82, 0xffffff                               // 0000000081B4: 8652FF52 00FFFFFF
	s_cmp_lt_u32 s82, s66                                      // 0000000081BC: BF0A4252
	s_cselect_b32 s20, s36, s60                                // 0000000081C0: 85143C24
	v_readlane_b32 s82, v3, 7                                  // 0000000081C4: D2890052 00010F03
	s_and_b32 s82, s82, 0xffffff                               // 0000000081CC: 8652FF52 00FFFFFF
	s_cmp_lt_u32 s82, s66                                      // 0000000081D4: BF0A4252
	s_cselect_b32 s21, s36, s60                                // 0000000081D8: 85153C24
	s_mov_b64 exec, s[20:21]                                   // 0000000081DC: BEFE0114
	global_atomic_add_f32 v6, v139, s[8:9] offset:8            // 0000000081E0: DD348008 00088B06
	s_mov_b64 exec, s[36:37]                                   // 0000000081E8: BEFE0124
	v_mov_b32_e32 v6, v72                                      // 0000000081EC: 7E0C0348
	s_mov_b64 s[60:61], 0                                      // 0000000081F0: BEBC0180
	v_readlane_b32 s82, v3, 8                                  // 0000000081F4: D2890052 00011103
	s_and_b32 s82, s82, 0xffffff                               // 0000000081FC: 8652FF52 00FFFFFF
	s_cmp_lt_u32 s82, s66                                      // 000000008204: BF0A4252
	s_cselect_b32 s20, s36, s60                                // 000000008208: 85143C24
	v_readlane_b32 s82, v3, 9                                  // 00000000820C: D2890052 00011303
	s_and_b32 s82, s82, 0xffffff                               // 000000008214: 8652FF52 00FFFFFF
	s_cmp_lt_u32 s82, s66                                      // 00000000821C: BF0A4252
	s_cselect_b32 s21, s36, s60                                // 000000008220: 85153C24
	s_mov_b64 exec, s[20:21]                                   // 000000008224: BEFE0114
	global_atomic_add_f32 v6, v142, s[8:9] offset:8            // 000000008228: DD348008 00088E06
	s_mov_b64 exec, s[36:37]                                   // 000000008230: BEFE0124
	v_mov_b32_e32 v6, v73                                      // 000000008234: 7E0C0349
	s_mov_b64 s[60:61], 0                                      // 000000008238: BEBC0180
	v_readlane_b32 s82, v3, 10                                 // 00000000823C: D2890052 00011503
	s_and_b32 s82, s82, 0xffffff                               // 000000008244: 8652FF52 00FFFFFF
	s_cmp_lt_u32 s82, s66                                      // 00000000824C: BF0A4252
	s_cselect_b32 s20, s36, s60                                // 000000008250: 85143C24
	v_readlane_b32 s82, v3, 11                                 // 000000008254: D2890052 00011703
	s_and_b32 s82, s82, 0xffffff                               // 00000000825C: 8652FF52 00FFFFFF
	s_cmp_lt_u32 s82, s66                                      // 000000008264: BF0A4252
	s_cselect_b32 s21, s36, s60                                // 000000008268: 85153C24
	s_mov_b64 exec, s[20:21]                                   // 00000000826C: BEFE0114
	global_atomic_add_f32 v6, v143, s[8:9] offset:8            // 000000008270: DD348008 00088F06
	s_mov_b64 exec, s[36:37]                                   // 000000008278: BEFE0124
	v_mov_b32_e32 v6, v74                                      // 00000000827C: 7E0C034A
	s_mov_b64 s[60:61], 0                                      // 000000008280: BEBC0180
	v_readlane_b32 s82, v3, 12                                 // 000000008284: D2890052 00011903
	s_and_b32 s82, s82, 0xffffff                               // 00000000828C: 8652FF52 00FFFFFF
	s_cmp_lt_u32 s82, s66                                      // 000000008294: BF0A4252
	s_cselect_b32 s20, s36, s60                                // 000000008298: 85143C24
	v_readlane_b32 s82, v3, 13                                 // 00000000829C: D2890052 00011B03
	s_and_b32 s82, s82, 0xffffff                               // 0000000082A4: 8652FF52 00FFFFFF
	s_cmp_lt_u32 s82, s66                                      // 0000000082AC: BF0A4252
	s_cselect_b32 s21, s36, s60                                // 0000000082B0: 85153C24
	s_mov_b64 exec, s[20:21]                                   // 0000000082B4: BEFE0114
	global_atomic_add_f32 v6, v146, s[8:9] offset:8            // 0000000082B8: DD348008 00089206
	s_mov_b64 exec, s[36:37]                                   // 0000000082C0: BEFE0124
	v_mov_b32_e32 v6, v75                                      // 0000000082C4: 7E0C034B
	s_mov_b64 s[60:61], 0                                      // 0000000082C8: BEBC0180
	v_readlane_b32 s82, v3, 14                                 // 0000000082CC: D2890052 00011D03
	s_and_b32 s82, s82, 0xffffff                               // 0000000082D4: 8652FF52 00FFFFFF
	s_cmp_lt_u32 s82, s66                                      // 0000000082DC: BF0A4252
	s_cselect_b32 s20, s36, s60                                // 0000000082E0: 85143C24
	v_readlane_b32 s82, v3, 15                                 // 0000000082E4: D2890052 00011F03
	s_and_b32 s82, s82, 0xffffff                               // 0000000082EC: 8652FF52 00FFFFFF
	s_cmp_lt_u32 s82, s66                                      // 0000000082F4: BF0A4252
	s_cselect_b32 s21, s36, s60                                // 0000000082F8: 85153C24
	s_mov_b64 exec, s[20:21]                                   // 0000000082FC: BEFE0114
	global_atomic_add_f32 v6, v147, s[8:9] offset:8            // 000000008300: DD348008 00089306
	s_mov_b64 exec, s[36:37]                                   // 000000008308: BEFE0124
	v_mov_b32_e32 v6, v76                                      // 00000000830C: 7E0C034C
	s_mov_b64 s[60:61], 0                                      // 000000008310: BEBC0180
	v_readlane_b32 s82, v3, 16                                 // 000000008314: D2890052 00012103
	s_and_b32 s82, s82, 0xffffff                               // 00000000831C: 8652FF52 00FFFFFF
	s_cmp_lt_u32 s82, s66                                      // 000000008324: BF0A4252
	s_cselect_b32 s20, s36, s60                                // 000000008328: 85143C24
	v_readlane_b32 s82, v3, 17                                 // 00000000832C: D2890052 00012303
	s_and_b32 s82, s82, 0xffffff                               // 000000008334: 8652FF52 00FFFFFF
	s_cmp_lt_u32 s82, s66                                      // 00000000833C: BF0A4252
	s_cselect_b32 s21, s36, s60                                // 000000008340: 85153C24
	s_mov_b64 exec, s[20:21]                                   // 000000008344: BEFE0114
	global_atomic_add_f32 v6, v150, s[8:9] offset:8            // 000000008348: DD348008 00089606
	s_mov_b64 exec, s[36:37]                                   // 000000008350: BEFE0124
	v_mov_b32_e32 v6, v77                                      // 000000008354: 7E0C034D
	s_mov_b64 s[60:61], 0                                      // 000000008358: BEBC0180
	v_readlane_b32 s82, v3, 18                                 // 00000000835C: D2890052 00012503
	s_and_b32 s82, s82, 0xffffff                               // 000000008364: 8652FF52 00FFFFFF
	s_cmp_lt_u32 s82, s66                                      // 00000000836C: BF0A4252
	s_cselect_b32 s20, s36, s60                                // 000000008370: 85143C24
	v_readlane_b32 s82, v3, 19                                 // 000000008374: D2890052 00012703
	s_and_b32 s82, s82, 0xffffff                               // 00000000837C: 8652FF52 00FFFFFF
	s_cmp_lt_u32 s82, s66                                      // 000000008384: BF0A4252
	s_cselect_b32 s21, s36, s60                                // 000000008388: 85153C24
	s_mov_b64 exec, s[20:21]                                   // 00000000838C: BEFE0114
	global_atomic_add_f32 v6, v151, s[8:9] offset:8            // 000000008390: DD348008 00089706
	s_mov_b64 exec, s[36:37]                                   // 000000008398: BEFE0124
	v_mov_b32_e32 v6, v78                                      // 00000000839C: 7E0C034E
	s_mov_b64 s[60:61], 0                                      // 0000000083A0: BEBC0180
	v_readlane_b32 s82, v3, 20                                 // 0000000083A4: D2890052 00012903
	s_and_b32 s82, s82, 0xffffff                               // 0000000083AC: 8652FF52 00FFFFFF
	s_cmp_lt_u32 s82, s66                                      // 0000000083B4: BF0A4252
	s_cselect_b32 s20, s36, s60                                // 0000000083B8: 85143C24
	v_readlane_b32 s82, v3, 21                                 // 0000000083BC: D2890052 00012B03
	s_and_b32 s82, s82, 0xffffff                               // 0000000083C4: 8652FF52 00FFFFFF
	s_cmp_lt_u32 s82, s66                                      // 0000000083CC: BF0A4252
	s_cselect_b32 s21, s36, s60                                // 0000000083D0: 85153C24
	s_mov_b64 exec, s[20:21]                                   // 0000000083D4: BEFE0114
	global_atomic_add_f32 v6, v154, s[8:9] offset:8            // 0000000083D8: DD348008 00089A06
	s_mov_b64 exec, s[36:37]                                   // 0000000083E0: BEFE0124
	v_mov_b32_e32 v6, v79                                      // 0000000083E4: 7E0C034F
	s_mov_b64 s[60:61], 0                                      // 0000000083E8: BEBC0180
	v_readlane_b32 s82, v3, 22                                 // 0000000083EC: D2890052 00012D03
	s_and_b32 s82, s82, 0xffffff                               // 0000000083F4: 8652FF52 00FFFFFF
	s_cmp_lt_u32 s82, s66                                      // 0000000083FC: BF0A4252
	s_cselect_b32 s20, s36, s60                                // 000000008400: 85143C24
	v_readlane_b32 s82, v3, 23                                 // 000000008404: D2890052 00012F03
	s_and_b32 s82, s82, 0xffffff                               // 00000000840C: 8652FF52 00FFFFFF
	s_cmp_lt_u32 s82, s66                                      // 000000008414: BF0A4252
	s_cselect_b32 s21, s36, s60                                // 000000008418: 85153C24
	s_mov_b64 exec, s[20:21]                                   // 00000000841C: BEFE0114
	global_atomic_add_f32 v6, v155, s[8:9] offset:8            // 000000008420: DD348008 00089B06
	s_mov_b64 exec, s[36:37]                                   // 000000008428: BEFE0124
	v_mov_b32_e32 v6, v80                                      // 00000000842C: 7E0C0350
	s_mov_b64 s[60:61], 0                                      // 000000008430: BEBC0180
	v_readlane_b32 s82, v3, 24                                 // 000000008434: D2890052 00013103
	s_and_b32 s82, s82, 0xffffff                               // 00000000843C: 8652FF52 00FFFFFF
	s_cmp_lt_u32 s82, s66                                      // 000000008444: BF0A4252
	s_cselect_b32 s20, s36, s60                                // 000000008448: 85143C24
	v_readlane_b32 s82, v3, 25                                 // 00000000844C: D2890052 00013303
	s_and_b32 s82, s82, 0xffffff                               // 000000008454: 8652FF52 00FFFFFF
	s_cmp_lt_u32 s82, s66                                      // 00000000845C: BF0A4252
	s_cselect_b32 s21, s36, s60                                // 000000008460: 85153C24
	s_mov_b64 exec, s[20:21]                                   // 000000008464: BEFE0114
	global_atomic_add_f32 v6, v158, s[8:9] offset:8            // 000000008468: DD348008 00089E06
	s_mov_b64 exec, s[36:37]                                   // 000000008470: BEFE0124
	v_mov_b32_e32 v6, v81                                      // 000000008474: 7E0C0351
	s_mov_b64 s[60:61], 0                                      // 000000008478: BEBC0180
	v_readlane_b32 s82, v3, 26                                 // 00000000847C: D2890052 00013503
	s_and_b32 s82, s82, 0xffffff                               // 000000008484: 8652FF52 00FFFFFF
	s_cmp_lt_u32 s82, s66                                      // 00000000848C: BF0A4252
	s_cselect_b32 s20, s36, s60                                // 000000008490: 85143C24
	v_readlane_b32 s82, v3, 27                                 // 000000008494: D2890052 00013703
	s_and_b32 s82, s82, 0xffffff                               // 00000000849C: 8652FF52 00FFFFFF
	s_cmp_lt_u32 s82, s66                                      // 0000000084A4: BF0A4252
	s_cselect_b32 s21, s36, s60                                // 0000000084A8: 85153C24
	s_mov_b64 exec, s[20:21]                                   // 0000000084AC: BEFE0114
	global_atomic_add_f32 v6, v159, s[8:9] offset:8            // 0000000084B0: DD348008 00089F06
	s_mov_b64 exec, s[36:37]                                   // 0000000084B8: BEFE0124
	v_mov_b32_e32 v6, v82                                      // 0000000084BC: 7E0C0352
	s_mov_b64 s[60:61], 0                                      // 0000000084C0: BEBC0180
	v_readlane_b32 s82, v3, 28                                 // 0000000084C4: D2890052 00013903
	s_and_b32 s82, s82, 0xffffff                               // 0000000084CC: 8652FF52 00FFFFFF
	s_cmp_lt_u32 s82, s66                                      // 0000000084D4: BF0A4252
	s_cselect_b32 s20, s36, s60                                // 0000000084D8: 85143C24
	v_readlane_b32 s82, v3, 29                                 // 0000000084DC: D2890052 00013B03
	s_and_b32 s82, s82, 0xffffff                               // 0000000084E4: 8652FF52 00FFFFFF
	s_cmp_lt_u32 s82, s66                                      // 0000000084EC: BF0A4252
	s_cselect_b32 s21, s36, s60                                // 0000000084F0: 85153C24
	s_mov_b64 exec, s[20:21]                                   // 0000000084F4: BEFE0114
	global_atomic_add_f32 v6, v162, s[8:9] offset:8            // 0000000084F8: DD348008 0008A206
	s_mov_b64 exec, s[36:37]                                   // 000000008500: BEFE0124
	v_mov_b32_e32 v6, v83                                      // 000000008504: 7E0C0353
	s_mov_b64 s[60:61], 0                                      // 000000008508: BEBC0180
	v_readlane_b32 s82, v3, 30                                 // 00000000850C: D2890052 00013D03
	s_and_b32 s82, s82, 0xffffff                               // 000000008514: 8652FF52 00FFFFFF
	s_cmp_lt_u32 s82, s66                                      // 00000000851C: BF0A4252
	s_cselect_b32 s20, s36, s60                                // 000000008520: 85143C24
	v_readlane_b32 s82, v3, 31                                 // 000000008524: D2890052 00013F03
	s_and_b32 s82, s82, 0xffffff                               // 00000000852C: 8652FF52 00FFFFFF
	s_cmp_lt_u32 s82, s66                                      // 000000008534: BF0A4252
	s_cselect_b32 s21, s36, s60                                // 000000008538: 85153C24
	s_mov_b64 exec, s[20:21]                                   // 00000000853C: BEFE0114
	global_atomic_add_f32 v6, v163, s[8:9] offset:8            // 000000008540: DD348008 0008A306
	s_mov_b64 exec, s[36:37]                                   // 000000008548: BEFE0124
	v_mov_b32_e32 v6, v84                                      // 00000000854C: 7E0C0354
	s_mov_b64 s[60:61], 0                                      // 000000008550: BEBC0180
	v_readlane_b32 s82, v3, 32                                 // 000000008554: D2890052 00014103
	s_and_b32 s82, s82, 0xffffff                               // 00000000855C: 8652FF52 00FFFFFF
	s_cmp_lt_u32 s82, s66                                      // 000000008564: BF0A4252
	s_cselect_b32 s20, s36, s60                                // 000000008568: 85143C24
	v_readlane_b32 s82, v3, 33                                 // 00000000856C: D2890052 00014303
	s_and_b32 s82, s82, 0xffffff                               // 000000008574: 8652FF52 00FFFFFF
	s_cmp_lt_u32 s82, s66                                      // 00000000857C: BF0A4252
	s_cselect_b32 s21, s36, s60                                // 000000008580: 85153C24
	s_mov_b64 exec, s[20:21]                                   // 000000008584: BEFE0114
	global_atomic_add_f32 v6, v166, s[8:9] offset:8            // 000000008588: DD348008 0008A606
	s_mov_b64 exec, s[36:37]                                   // 000000008590: BEFE0124
	v_mov_b32_e32 v6, v85                                      // 000000008594: 7E0C0355
	s_mov_b64 s[60:61], 0                                      // 000000008598: BEBC0180
	v_readlane_b32 s82, v3, 34                                 // 00000000859C: D2890052 00014503
	s_and_b32 s82, s82, 0xffffff                               // 0000000085A4: 8652FF52 00FFFFFF
	s_cmp_lt_u32 s82, s66                                      // 0000000085AC: BF0A4252
	s_cselect_b32 s20, s36, s60                                // 0000000085B0: 85143C24
	v_readlane_b32 s82, v3, 35                                 // 0000000085B4: D2890052 00014703
	s_and_b32 s82, s82, 0xffffff                               // 0000000085BC: 8652FF52 00FFFFFF
	s_cmp_lt_u32 s82, s66                                      // 0000000085C4: BF0A4252
	s_cselect_b32 s21, s36, s60                                // 0000000085C8: 85153C24
	s_mov_b64 exec, s[20:21]                                   // 0000000085CC: BEFE0114
	global_atomic_add_f32 v6, v167, s[8:9] offset:8            // 0000000085D0: DD348008 0008A706
	s_mov_b64 exec, s[36:37]                                   // 0000000085D8: BEFE0124
	v_mov_b32_e32 v6, v86                                      // 0000000085DC: 7E0C0356
	s_mov_b64 s[60:61], 0                                      // 0000000085E0: BEBC0180
	v_readlane_b32 s82, v3, 36                                 // 0000000085E4: D2890052 00014903
	s_and_b32 s82, s82, 0xffffff                               // 0000000085EC: 8652FF52 00FFFFFF
	s_cmp_lt_u32 s82, s66                                      // 0000000085F4: BF0A4252
	s_cselect_b32 s20, s36, s60                                // 0000000085F8: 85143C24
	v_readlane_b32 s82, v3, 37                                 // 0000000085FC: D2890052 00014B03
	s_and_b32 s82, s82, 0xffffff                               // 000000008604: 8652FF52 00FFFFFF
	s_cmp_lt_u32 s82, s66                                      // 00000000860C: BF0A4252
	s_cselect_b32 s21, s36, s60                                // 000000008610: 85153C24
	s_mov_b64 exec, s[20:21]                                   // 000000008614: BEFE0114
	global_atomic_add_f32 v6, v170, s[8:9] offset:8            // 000000008618: DD348008 0008AA06
	s_mov_b64 exec, s[36:37]                                   // 000000008620: BEFE0124
	v_mov_b32_e32 v6, v87                                      // 000000008624: 7E0C0357
	s_mov_b64 s[60:61], 0                                      // 000000008628: BEBC0180
	v_readlane_b32 s82, v3, 38                                 // 00000000862C: D2890052 00014D03
	s_and_b32 s82, s82, 0xffffff                               // 000000008634: 8652FF52 00FFFFFF
	s_cmp_lt_u32 s82, s66                                      // 00000000863C: BF0A4252
	s_cselect_b32 s20, s36, s60                                // 000000008640: 85143C24
	v_readlane_b32 s82, v3, 39                                 // 000000008644: D2890052 00014F03
	s_and_b32 s82, s82, 0xffffff                               // 00000000864C: 8652FF52 00FFFFFF
	s_cmp_lt_u32 s82, s66                                      // 000000008654: BF0A4252
	s_cselect_b32 s21, s36, s60                                // 000000008658: 85153C24
	s_mov_b64 exec, s[20:21]                                   // 00000000865C: BEFE0114
	global_atomic_add_f32 v6, v171, s[8:9] offset:8            // 000000008660: DD348008 0008AB06
	s_mov_b64 exec, s[36:37]                                   // 000000008668: BEFE0124
	s_branch label_2A6B                                        // 00000000866C: BF82134C

0000000000008670 <label_171F>:
	s_waitcnt vmcnt(0) lgkmcnt(0)                              // 000000008670: BF8C0070
	s_barrier                                                  // 000000008674: BF8A0000
	v_mfma_f32_16x16x32_fp8_fp8 v[92:95], a[160:161], a[0:1], v[92:95]// 000000008678: D3F3005C 1D7201A0
	buffer_load_dwordx4 a[168:171], v88, s[84:87], 0 offen     // 000000008680: E05C1000 8095A858
	v_mfma_f32_16x16x32_fp8_fp8 v[92:95], a[162:163], a[2:3], v[92:95]// 000000008688: D3F3005C 1D7205A2
	v_mfma_f32_16x16x32_fp8_fp8 v[92:95], a[164:165], a[4:5], v[92:95]// 000000008690: D3F3005C 1D7209A4
	v_mfma_f32_16x16x32_fp8_fp8 v[92:95], a[166:167], a[6:7], v[92:95]// 000000008698: D3F3005C 1D720DA6
	v_mfma_f32_16x16x32_fp8_fp8 v[96:99], a[160:161], a[8:9], v[96:99]// 0000000086A0: D3F30060 1D8211A0
	buffer_load_dwordx4 a[172:175], v88, s[84:87], 0 offen offset:1024// 0000000086A8: E05C1400 8095AC58
	buffer_load_dword v68, s[20:23], 0 offen lds               // 0000000086B0: E0511000 80050044
	s_add_u32 m0, 0x100, s48                                   // 0000000086B8: 807C30FF 00000100
	v_mfma_f32_16x16x32_fp8_fp8 v[96:99], a[162:163], a[10:11], v[96:99]// 0000000086C0: D3F30060 1D8215A2
	v_mfma_f32_16x16x32_fp8_fp8 v[96:99], a[164:165], a[12:13], v[96:99]// 0000000086C8: D3F30060 1D8219A4
	buffer_load_dword v69, s[20:23], 0 offen lds               // 0000000086D0: E0511000 80050045
	s_add_u32 m0, 0x200, s48                                   // 0000000086D8: 807C30FF 00000200
	v_mfma_f32_16x16x32_fp8_fp8 v[96:99], a[166:167], a[14:15], v[96:99]// 0000000086E0: D3F30060 1D821DA6
	v_mfma_f32_16x16x32_fp8_fp8 v[100:103], a[160:161], a[16:17], v[100:103]// 0000000086E8: D3F30064 1D9221A0
	buffer_load_dword v70, s[20:23], 0 offen lds               // 0000000086F0: E0511000 80050046
	s_add_u32 m0, 0x300, s48                                   // 0000000086F8: 807C30FF 00000300
	v_mfma_f32_16x16x32_fp8_fp8 v[100:103], a[162:163], a[18:19], v[100:103]// 000000008700: D3F30064 1D9225A2
	v_mfma_f32_16x16x32_fp8_fp8 v[100:103], a[164:165], a[20:21], v[100:103]// 000000008708: D3F30064 1D9229A4
	buffer_load_dword v71, s[20:23], 0 offen lds               // 000000008710: E0511000 80050047
	s_add_u32 m0, 0x400, s48                                   // 000000008718: 807C30FF 00000400
	v_mfma_f32_16x16x32_fp8_fp8 v[100:103], a[166:167], a[22:23], v[100:103]// 000000008720: D3F30064 1D922DA6
	v_mfma_f32_16x16x32_fp8_fp8 v[104:107], a[160:161], a[24:25], v[104:107]// 000000008728: D3F30068 1DA231A0
	buffer_load_dword v72, s[20:23], 0 offen lds               // 000000008730: E0511000 80050048
	s_add_u32 m0, 0x500, s48                                   // 000000008738: 807C30FF 00000500
	v_mfma_f32_16x16x32_fp8_fp8 v[104:107], a[162:163], a[26:27], v[104:107]// 000000008740: D3F30068 1DA235A2
	v_mfma_f32_16x16x32_fp8_fp8 v[104:107], a[164:165], a[28:29], v[104:107]// 000000008748: D3F30068 1DA239A4
	buffer_load_dword v73, s[20:23], 0 offen lds               // 000000008750: E0511000 80050049
	s_add_u32 m0, 0x600, s48                                   // 000000008758: 807C30FF 00000600
	v_mfma_f32_16x16x32_fp8_fp8 v[104:107], a[166:167], a[30:31], v[104:107]// 000000008760: D3F30068 1DA23DA6
	v_mfma_f32_16x16x32_fp8_fp8 v[108:111], a[160:161], a[32:33], v[108:111]// 000000008768: D3F3006C 1DB241A0
	buffer_load_dword v74, s[20:23], 0 offen lds               // 000000008770: E0511000 8005004A
	s_add_u32 m0, 0x700, s48                                   // 000000008778: 807C30FF 00000700
	v_mfma_f32_16x16x32_fp8_fp8 v[108:111], a[162:163], a[34:35], v[108:111]// 000000008780: D3F3006C 1DB245A2
	v_mfma_f32_16x16x32_fp8_fp8 v[108:111], a[164:165], a[36:37], v[108:111]// 000000008788: D3F3006C 1DB249A4
	buffer_load_dword v75, s[20:23], 0 offen lds               // 000000008790: E0511000 8005004B
	s_add_u32 m0, 0x800, s48                                   // 000000008798: 807C30FF 00000800
	v_mfma_f32_16x16x32_fp8_fp8 v[108:111], a[166:167], a[38:39], v[108:111]// 0000000087A0: D3F3006C 1DB24DA6
	v_mfma_f32_16x16x32_fp8_fp8 v[112:115], a[160:161], a[40:41], v[112:115]// 0000000087A8: D3F30070 1DC251A0
	buffer_load_dword v76, s[20:23], 0 offen lds               // 0000000087B0: E0511000 8005004C
	s_add_u32 m0, 0x900, s48                                   // 0000000087B8: 807C30FF 00000900
	v_mfma_f32_16x16x32_fp8_fp8 v[112:115], a[162:163], a[42:43], v[112:115]// 0000000087C0: D3F30070 1DC255A2
	v_mfma_f32_16x16x32_fp8_fp8 v[112:115], a[164:165], a[44:45], v[112:115]// 0000000087C8: D3F30070 1DC259A4
	buffer_load_dword v77, s[20:23], 0 offen lds               // 0000000087D0: E0511000 8005004D
	s_add_u32 m0, 0xa00, s48                                   // 0000000087D8: 807C30FF 00000A00
	v_mfma_f32_16x16x32_fp8_fp8 v[112:115], a[166:167], a[46:47], v[112:115]// 0000000087E0: D3F30070 1DC25DA6
	v_mfma_f32_16x16x32_fp8_fp8 v[116:119], a[160:161], a[48:49], v[116:119]// 0000000087E8: D3F30074 1DD261A0
	buffer_load_dword v78, s[20:23], 0 offen lds               // 0000000087F0: E0511000 8005004E
	s_add_u32 m0, 0xb00, s48                                   // 0000000087F8: 807C30FF 00000B00
	v_mfma_f32_16x16x32_fp8_fp8 v[116:119], a[162:163], a[50:51], v[116:119]// 000000008800: D3F30074 1DD265A2
	v_mfma_f32_16x16x32_fp8_fp8 v[116:119], a[164:165], a[52:53], v[116:119]// 000000008808: D3F30074 1DD269A4
	buffer_load_dword v79, s[20:23], 0 offen lds               // 000000008810: E0511000 8005004F
	s_add_u32 m0, 0xc00, s48                                   // 000000008818: 807C30FF 00000C00
	v_mfma_f32_16x16x32_fp8_fp8 v[116:119], a[166:167], a[54:55], v[116:119]// 000000008820: D3F30074 1DD26DA6
	v_mfma_f32_16x16x32_fp8_fp8 v[120:123], a[160:161], a[56:57], v[120:123]// 000000008828: D3F30078 1DE271A0
	buffer_load_dword v80, s[20:23], 0 offen lds               // 000000008830: E0511000 80050050
	s_add_u32 m0, 0xd00, s48                                   // 000000008838: 807C30FF 00000D00
	v_mfma_f32_16x16x32_fp8_fp8 v[120:123], a[162:163], a[58:59], v[120:123]// 000000008840: D3F30078 1DE275A2
	v_mfma_f32_16x16x32_fp8_fp8 v[120:123], a[164:165], a[60:61], v[120:123]// 000000008848: D3F30078 1DE279A4
	buffer_load_dword v81, s[20:23], 0 offen lds               // 000000008850: E0511000 80050051
	s_add_u32 m0, 0xe00, s48                                   // 000000008858: 807C30FF 00000E00
	v_mfma_f32_16x16x32_fp8_fp8 v[120:123], a[166:167], a[62:63], v[120:123]// 000000008860: D3F30078 1DE27DA6
	v_mfma_f32_16x16x32_fp8_fp8 v[124:127], a[160:161], a[64:65], v[124:127]// 000000008868: D3F3007C 1DF281A0
	buffer_load_dword v82, s[20:23], 0 offen lds               // 000000008870: E0511000 80050052
	s_add_u32 m0, 0xf00, s48                                   // 000000008878: 807C30FF 00000F00
	v_mfma_f32_16x16x32_fp8_fp8 v[124:127], a[162:163], a[66:67], v[124:127]// 000000008880: D3F3007C 1DF285A2
	v_mfma_f32_16x16x32_fp8_fp8 v[124:127], a[164:165], a[68:69], v[124:127]// 000000008888: D3F3007C 1DF289A4
	buffer_load_dword v83, s[20:23], 0 offen lds               // 000000008890: E0511000 80050053
	s_add_u32 m0, 0x1000, s48                                  // 000000008898: 807C30FF 00001000
	v_mfma_f32_16x16x32_fp8_fp8 v[124:127], a[166:167], a[70:71], v[124:127]// 0000000088A0: D3F3007C 1DF28DA6
	v_mfma_f32_16x16x32_fp8_fp8 v[128:131], a[160:161], a[72:73], v[128:131]// 0000000088A8: D3F30080 1E0291A0
	buffer_load_dword v84, s[20:23], 0 offen lds               // 0000000088B0: E0511000 80050054
	s_add_u32 m0, 0x1100, s48                                  // 0000000088B8: 807C30FF 00001100
	v_mfma_f32_16x16x32_fp8_fp8 v[128:131], a[162:163], a[74:75], v[128:131]// 0000000088C0: D3F30080 1E0295A2
	s_add_u32 s60, 0x80, s80                                   // 0000000088C8: 803C50FF 00000080
	s_cmp_lt_u32 s60, s81                                      // 0000000088D0: BF0A513C
	s_cselect_b32 s83, s83, 0                                  // 0000000088D4: 85538053
	v_mfma_f32_16x16x32_fp8_fp8 v[128:131], a[164:165], a[76:77], v[128:131]// 0000000088D8: D3F30080 1E0299A4
	buffer_load_dword v85, s[20:23], 0 offen lds               // 0000000088E0: E0511000 80050055
	s_add_u32 m0, 0x1200, s48                                  // 0000000088E8: 807C30FF 00001200
	v_mfma_f32_16x16x32_fp8_fp8 v[128:131], a[166:167], a[78:79], v[128:131]// 0000000088F0: D3F30080 1E029DA6
	buffer_load_dword v86, s[20:23], 0 offen lds               // 0000000088F8: E0511000 80050056
	s_add_u32 m0, 0x1300, s48                                  // 000000008900: 807C30FF 00001300
	buffer_load_dword v87, s[20:23], 0 offen lds               // 000000008908: E0511000 80050057
	s_add_u32 m0, 0, s49                                       // 000000008910: 807C3180
	s_waitcnt vmcnt(20)                                        // 000000008914: BF8C4F74
	v_mfma_f32_16x16x32_fp8_fp8 v[132:135], a[168:169], a[0:1], v[132:135]// 000000008918: D3F30084 1E1201A8
	buffer_load_dwordx4 a[160:163], v88, s[24:27], 0 offen     // 000000008920: E05C1000 8086A058
	v_mfma_f32_16x16x32_fp8_fp8 v[132:135], a[170:171], a[2:3], v[132:135]// 000000008928: D3F30084 1E1205AA
	v_mfma_f32_16x16x32_fp8_fp8 v[132:135], a[172:173], a[4:5], v[132:135]// 000000008930: D3F30084 1E1209AC
	ds_read_b128 a[80:83], v2 offset:20608                     // 000000008938: DBFE5080 50000002
	ds_read_b128 a[84:87], v2 offset:20672                     // 000000008940: DBFE50C0 54000002
	v_mfma_f32_16x16x32_fp8_fp8 v[132:135], a[174:175], a[6:7], v[132:135]// 000000008948: D3F30084 1E120DAE
	v_mfma_f32_16x16x32_fp8_fp8 v[136:139], a[168:169], a[8:9], v[136:139]// 000000008950: D3F30088 1E2211A8
	buffer_load_dwordx4 a[164:167], v88, s[24:27], 0 offen offset:1024// 000000008958: E05C1400 8086A458
	v_mfma_f32_16x16x32_fp8_fp8 v[136:139], a[170:171], a[10:11], v[136:139]// 000000008960: D3F30088 1E2215AA
	v_mfma_f32_16x16x32_fp8_fp8 v[136:139], a[172:173], a[12:13], v[136:139]// 000000008968: D3F30088 1E2219AC
	ds_read_b128 a[88:91], v2 offset:21120                     // 000000008970: DBFE5280 58000002
	ds_read_b128 a[92:95], v2 offset:21184                     // 000000008978: DBFE52C0 5C000002
	v_mfma_f32_16x16x32_fp8_fp8 v[136:139], a[174:175], a[14:15], v[136:139]// 000000008980: D3F30088 1E221DAE
	v_mfma_f32_16x16x32_fp8_fp8 v[140:143], a[168:169], a[16:17], v[140:143]// 000000008988: D3F3008C 1E3221A8
	v_mfma_f32_16x16x32_fp8_fp8 v[140:143], a[170:171], a[18:19], v[140:143]// 000000008990: D3F3008C 1E3225AA
	v_mfma_f32_16x16x32_fp8_fp8 v[140:143], a[172:173], a[20:21], v[140:143]// 000000008998: D3F3008C 1E3229AC
	ds_read_b128 a[96:99], v2 offset:21632                     // 0000000089A0: DBFE5480 60000002
	ds_read_b128 a[100:103], v2 offset:21696                   // 0000000089A8: DBFE54C0 64000002
	v_mfma_f32_16x16x32_fp8_fp8 v[140:143], a[174:175], a[22:23], v[140:143]// 0000000089B0: D3F3008C 1E322DAE
	v_mfma_f32_16x16x32_fp8_fp8 v[144:147], a[168:169], a[24:25], v[144:147]// 0000000089B8: D3F30090 1E4231A8
	v_mfma_f32_16x16x32_fp8_fp8 v[144:147], a[170:171], a[26:27], v[144:147]// 0000000089C0: D3F30090 1E4235AA
	v_mfma_f32_16x16x32_fp8_fp8 v[144:147], a[172:173], a[28:29], v[144:147]// 0000000089C8: D3F30090 1E4239AC
	ds_read_b128 a[104:107], v2 offset:22144                   // 0000000089D0: DBFE5680 68000002
	ds_read_b128 a[108:111], v2 offset:22208                   // 0000000089D8: DBFE56C0 6C000002
	v_mfma_f32_16x16x32_fp8_fp8 v[144:147], a[174:175], a[30:31], v[144:147]// 0000000089E0: D3F30090 1E423DAE
	v_mfma_f32_16x16x32_fp8_fp8 v[148:151], a[168:169], a[32:33], v[148:151]// 0000000089E8: D3F30094 1E5241A8
	v_mfma_f32_16x16x32_fp8_fp8 v[148:151], a[170:171], a[34:35], v[148:151]// 0000000089F0: D3F30094 1E5245AA
	v_mfma_f32_16x16x32_fp8_fp8 v[148:151], a[172:173], a[36:37], v[148:151]// 0000000089F8: D3F30094 1E5249AC
	ds_read_b128 a[112:115], v2 offset:22656                   // 000000008A00: DBFE5880 70000002
	ds_read_b128 a[116:119], v2 offset:22720                   // 000000008A08: DBFE58C0 74000002
	v_mfma_f32_16x16x32_fp8_fp8 v[148:151], a[174:175], a[38:39], v[148:151]// 000000008A10: D3F30094 1E524DAE
	v_mfma_f32_16x16x32_fp8_fp8 v[152:155], a[168:169], a[40:41], v[152:155]// 000000008A18: D3F30098 1E6251A8
	v_mfma_f32_16x16x32_fp8_fp8 v[152:155], a[170:171], a[42:43], v[152:155]// 000000008A20: D3F30098 1E6255AA
	v_mfma_f32_16x16x32_fp8_fp8 v[152:155], a[172:173], a[44:45], v[152:155]// 000000008A28: D3F30098 1E6259AC
	ds_read_b128 a[120:123], v2 offset:23168                   // 000000008A30: DBFE5A80 78000002
	ds_read_b128 a[124:127], v2 offset:23232                   // 000000008A38: DBFE5AC0 7C000002
	v_mfma_f32_16x16x32_fp8_fp8 v[152:155], a[174:175], a[46:47], v[152:155]// 000000008A40: D3F30098 1E625DAE
	v_mfma_f32_16x16x32_fp8_fp8 v[156:159], a[168:169], a[48:49], v[156:159]// 000000008A48: D3F3009C 1E7261A8
	v_mfma_f32_16x16x32_fp8_fp8 v[156:159], a[170:171], a[50:51], v[156:159]// 000000008A50: D3F3009C 1E7265AA
	v_mfma_f32_16x16x32_fp8_fp8 v[156:159], a[172:173], a[52:53], v[156:159]// 000000008A58: D3F3009C 1E7269AC
	ds_read_b128 a[128:131], v2 offset:23680                   // 000000008A60: DBFE5C80 80000002
	ds_read_b128 a[132:135], v2 offset:23744                   // 000000008A68: DBFE5CC0 84000002
	v_mfma_f32_16x16x32_fp8_fp8 v[156:159], a[174:175], a[54:55], v[156:159]// 000000008A70: D3F3009C 1E726DAE
	v_mfma_f32_16x16x32_fp8_fp8 v[160:163], a[168:169], a[56:57], v[160:163]// 000000008A78: D3F300A0 1E8271A8
	v_mfma_f32_16x16x32_fp8_fp8 v[160:163], a[170:171], a[58:59], v[160:163]// 000000008A80: D3F300A0 1E8275AA
	v_mfma_f32_16x16x32_fp8_fp8 v[160:163], a[172:173], a[60:61], v[160:163]// 000000008A88: D3F300A0 1E8279AC
	ds_read_b128 a[136:139], v2 offset:24192                   // 000000008A90: DBFE5E80 88000002
	ds_read_b128 a[140:143], v2 offset:24256                   // 000000008A98: DBFE5EC0 8C000002
	v_mfma_f32_16x16x32_fp8_fp8 v[160:163], a[174:175], a[62:63], v[160:163]// 000000008AA0: D3F300A0 1E827DAE
	v_mfma_f32_16x16x32_fp8_fp8 v[164:167], a[168:169], a[64:65], v[164:167]// 000000008AA8: D3F300A4 1E9281A8
	v_mfma_f32_16x16x32_fp8_fp8 v[164:167], a[170:171], a[66:67], v[164:167]// 000000008AB0: D3F300A4 1E9285AA
	v_mfma_f32_16x16x32_fp8_fp8 v[164:167], a[172:173], a[68:69], v[164:167]// 000000008AB8: D3F300A4 1E9289AC
	ds_read_b128 a[144:147], v2 offset:24704                   // 000000008AC0: DBFE6080 90000002
	ds_read_b128 a[148:151], v2 offset:24768                   // 000000008AC8: DBFE60C0 94000002
	s_add_u32 s60, 0x180, s80                                  // 000000008AD0: 803C50FF 00000180
	s_cmp_lt_u32 s60, s81                                      // 000000008AD8: BF0A513C
	s_cselect_b32 s57, s57, 0                                  // 000000008ADC: 85398039
	v_mfma_f32_16x16x32_fp8_fp8 v[164:167], a[174:175], a[70:71], v[164:167]// 000000008AE0: D3F300A4 1E928DAE
	s_add_u32 s60, 0x100, s80                                  // 000000008AE8: 803C50FF 00000100
	s_cmp_lt_u32 s60, s81                                      // 000000008AF0: BF0A513C
	s_cselect_b32 s58, s58, 0                                  // 000000008AF4: 853A803A
	v_mfma_f32_16x16x32_fp8_fp8 v[168:171], a[168:169], a[72:73], v[168:171]// 000000008AF8: D3F300A8 1EA291A8
	s_add_u32 s24, s58, s24                                    // 000000008B00: 8018183A
	s_addc_u32 s25, 0, s25                                     // 000000008B04: 82191980
	v_mfma_f32_16x16x32_fp8_fp8 v[168:171], a[170:171], a[74:75], v[168:171]// 000000008B08: D3F300A8 1EA295AA
	s_add_u32 s20, s57, s20                                    // 000000008B10: 80141439
	s_addc_u32 s21, 0, s21                                     // 000000008B14: 82151580
	v_mfma_f32_16x16x32_fp8_fp8 v[168:171], a[172:173], a[76:77], v[168:171]// 000000008B18: D3F300A8 1EA299AC
	ds_read_b128 a[152:155], v2 offset:25216                   // 000000008B20: DBFE6280 98000002
	ds_read_b128 a[156:159], v2 offset:25280                   // 000000008B28: DBFE62C0 9C000002
	s_add_u32 s84, s83, s84                                    // 000000008B30: 80545453
	s_addc_u32 s85, 0, s85                                     // 000000008B34: 82555580
	v_mfma_f32_16x16x32_fp8_fp8 v[168:171], a[174:175], a[78:79], v[168:171]// 000000008B38: D3F300A8 1EA29DAE
	s_addk_i32 s80, 0x80                                       // 000000008B40: B7500080
	s_cmp_lt_i32 s80, s81                                      // 000000008B44: BF045150
	s_cbranch_scc0 label_198E                                  // 000000008B48: BF840138
	s_waitcnt vmcnt(0) lgkmcnt(0)                              // 000000008B4C: BF8C0070
	s_barrier                                                  // 000000008B50: BF8A0000
	v_mfma_f32_16x16x32_fp8_fp8 v[92:95], a[160:161], a[80:81], v[92:95]// 000000008B54: D3F3005C 1D72A1A0
	buffer_load_dwordx4 a[168:171], v88, s[84:87], 0 offen     // 000000008B5C: E05C1000 8095A858
	v_mfma_f32_16x16x32_fp8_fp8 v[92:95], a[162:163], a[82:83], v[92:95]// 000000008B64: D3F3005C 1D72A5A2
	v_mfma_f32_16x16x32_fp8_fp8 v[92:95], a[164:165], a[84:85], v[92:95]// 000000008B6C: D3F3005C 1D72A9A4
	v_mfma_f32_16x16x32_fp8_fp8 v[92:95], a[166:167], a[86:87], v[92:95]// 000000008B74: D3F3005C 1D72ADA6
	v_mfma_f32_16x16x32_fp8_fp8 v[96:99], a[160:161], a[88:89], v[96:99]// 000000008B7C: D3F30060 1D82B1A0
	buffer_load_dwordx4 a[172:175], v88, s[84:87], 0 offen offset:1024// 000000008B84: E05C1400 8095AC58
	buffer_load_dword v68, s[20:23], 0 offen lds               // 000000008B8C: E0511000 80050044
	s_add_u32 m0, 0x100, s49                                   // 000000008B94: 807C31FF 00000100
	v_mfma_f32_16x16x32_fp8_fp8 v[96:99], a[162:163], a[90:91], v[96:99]// 000000008B9C: D3F30060 1D82B5A2
	v_mfma_f32_16x16x32_fp8_fp8 v[96:99], a[164:165], a[92:93], v[96:99]// 000000008BA4: D3F30060 1D82B9A4
	buffer_load_dword v69, s[20:23], 0 offen lds               // 000000008BAC: E0511000 80050045
	s_add_u32 m0, 0x200, s49                                   // 000000008BB4: 807C31FF 00000200
	v_mfma_f32_16x16x32_fp8_fp8 v[96:99], a[166:167], a[94:95], v[96:99]// 000000008BBC: D3F30060 1D82BDA6
	v_mfma_f32_16x16x32_fp8_fp8 v[100:103], a[160:161], a[96:97], v[100:103]// 000000008BC4: D3F30064 1D92C1A0
	buffer_load_dword v70, s[20:23], 0 offen lds               // 000000008BCC: E0511000 80050046
	s_add_u32 m0, 0x300, s49                                   // 000000008BD4: 807C31FF 00000300
	v_mfma_f32_16x16x32_fp8_fp8 v[100:103], a[162:163], a[98:99], v[100:103]// 000000008BDC: D3F30064 1D92C5A2
	v_mfma_f32_16x16x32_fp8_fp8 v[100:103], a[164:165], a[100:101], v[100:103]// 000000008BE4: D3F30064 1D92C9A4
	buffer_load_dword v71, s[20:23], 0 offen lds               // 000000008BEC: E0511000 80050047
	s_add_u32 m0, 0x400, s49                                   // 000000008BF4: 807C31FF 00000400
	v_mfma_f32_16x16x32_fp8_fp8 v[100:103], a[166:167], a[102:103], v[100:103]// 000000008BFC: D3F30064 1D92CDA6
	v_mfma_f32_16x16x32_fp8_fp8 v[104:107], a[160:161], a[104:105], v[104:107]// 000000008C04: D3F30068 1DA2D1A0
	buffer_load_dword v72, s[20:23], 0 offen lds               // 000000008C0C: E0511000 80050048
	s_add_u32 m0, 0x500, s49                                   // 000000008C14: 807C31FF 00000500
	v_mfma_f32_16x16x32_fp8_fp8 v[104:107], a[162:163], a[106:107], v[104:107]// 000000008C1C: D3F30068 1DA2D5A2
	v_mfma_f32_16x16x32_fp8_fp8 v[104:107], a[164:165], a[108:109], v[104:107]// 000000008C24: D3F30068 1DA2D9A4
	buffer_load_dword v73, s[20:23], 0 offen lds               // 000000008C2C: E0511000 80050049
	s_add_u32 m0, 0x600, s49                                   // 000000008C34: 807C31FF 00000600
	v_mfma_f32_16x16x32_fp8_fp8 v[104:107], a[166:167], a[110:111], v[104:107]// 000000008C3C: D3F30068 1DA2DDA6
	v_mfma_f32_16x16x32_fp8_fp8 v[108:111], a[160:161], a[112:113], v[108:111]// 000000008C44: D3F3006C 1DB2E1A0
	buffer_load_dword v74, s[20:23], 0 offen lds               // 000000008C4C: E0511000 8005004A
	s_add_u32 m0, 0x700, s49                                   // 000000008C54: 807C31FF 00000700
	v_mfma_f32_16x16x32_fp8_fp8 v[108:111], a[162:163], a[114:115], v[108:111]// 000000008C5C: D3F3006C 1DB2E5A2
	v_mfma_f32_16x16x32_fp8_fp8 v[108:111], a[164:165], a[116:117], v[108:111]// 000000008C64: D3F3006C 1DB2E9A4
	buffer_load_dword v75, s[20:23], 0 offen lds               // 000000008C6C: E0511000 8005004B
	s_add_u32 m0, 0x800, s49                                   // 000000008C74: 807C31FF 00000800
	v_mfma_f32_16x16x32_fp8_fp8 v[108:111], a[166:167], a[118:119], v[108:111]// 000000008C7C: D3F3006C 1DB2EDA6
	v_mfma_f32_16x16x32_fp8_fp8 v[112:115], a[160:161], a[120:121], v[112:115]// 000000008C84: D3F30070 1DC2F1A0
	buffer_load_dword v76, s[20:23], 0 offen lds               // 000000008C8C: E0511000 8005004C
	s_add_u32 m0, 0x900, s49                                   // 000000008C94: 807C31FF 00000900
	v_mfma_f32_16x16x32_fp8_fp8 v[112:115], a[162:163], a[122:123], v[112:115]// 000000008C9C: D3F30070 1DC2F5A2
	v_mfma_f32_16x16x32_fp8_fp8 v[112:115], a[164:165], a[124:125], v[112:115]// 000000008CA4: D3F30070 1DC2F9A4
	buffer_load_dword v77, s[20:23], 0 offen lds               // 000000008CAC: E0511000 8005004D
	s_add_u32 m0, 0xa00, s49                                   // 000000008CB4: 807C31FF 00000A00
	v_mfma_f32_16x16x32_fp8_fp8 v[112:115], a[166:167], a[126:127], v[112:115]// 000000008CBC: D3F30070 1DC2FDA6
	v_mfma_f32_16x16x32_fp8_fp8 v[116:119], a[160:161], a[128:129], v[116:119]// 000000008CC4: D3F30074 1DD301A0
	buffer_load_dword v78, s[20:23], 0 offen lds               // 000000008CCC: E0511000 8005004E
	s_add_u32 m0, 0xb00, s49                                   // 000000008CD4: 807C31FF 00000B00
	v_mfma_f32_16x16x32_fp8_fp8 v[116:119], a[162:163], a[130:131], v[116:119]// 000000008CDC: D3F30074 1DD305A2
	v_mfma_f32_16x16x32_fp8_fp8 v[116:119], a[164:165], a[132:133], v[116:119]// 000000008CE4: D3F30074 1DD309A4
	buffer_load_dword v79, s[20:23], 0 offen lds               // 000000008CEC: E0511000 8005004F
	s_add_u32 m0, 0xc00, s49                                   // 000000008CF4: 807C31FF 00000C00
	v_mfma_f32_16x16x32_fp8_fp8 v[116:119], a[166:167], a[134:135], v[116:119]// 000000008CFC: D3F30074 1DD30DA6
	v_mfma_f32_16x16x32_fp8_fp8 v[120:123], a[160:161], a[136:137], v[120:123]// 000000008D04: D3F30078 1DE311A0
	buffer_load_dword v80, s[20:23], 0 offen lds               // 000000008D0C: E0511000 80050050
	s_add_u32 m0, 0xd00, s49                                   // 000000008D14: 807C31FF 00000D00
	v_mfma_f32_16x16x32_fp8_fp8 v[120:123], a[162:163], a[138:139], v[120:123]// 000000008D1C: D3F30078 1DE315A2
	v_mfma_f32_16x16x32_fp8_fp8 v[120:123], a[164:165], a[140:141], v[120:123]// 000000008D24: D3F30078 1DE319A4
	buffer_load_dword v81, s[20:23], 0 offen lds               // 000000008D2C: E0511000 80050051
	s_add_u32 m0, 0xe00, s49                                   // 000000008D34: 807C31FF 00000E00
	v_mfma_f32_16x16x32_fp8_fp8 v[120:123], a[166:167], a[142:143], v[120:123]// 000000008D3C: D3F30078 1DE31DA6
	v_mfma_f32_16x16x32_fp8_fp8 v[124:127], a[160:161], a[144:145], v[124:127]// 000000008D44: D3F3007C 1DF321A0
	buffer_load_dword v82, s[20:23], 0 offen lds               // 000000008D4C: E0511000 80050052
	s_add_u32 m0, 0xf00, s49                                   // 000000008D54: 807C31FF 00000F00
	v_mfma_f32_16x16x32_fp8_fp8 v[124:127], a[162:163], a[146:147], v[124:127]// 000000008D5C: D3F3007C 1DF325A2
	v_mfma_f32_16x16x32_fp8_fp8 v[124:127], a[164:165], a[148:149], v[124:127]// 000000008D64: D3F3007C 1DF329A4
	buffer_load_dword v83, s[20:23], 0 offen lds               // 000000008D6C: E0511000 80050053
	s_add_u32 m0, 0x1000, s49                                  // 000000008D74: 807C31FF 00001000
	v_mfma_f32_16x16x32_fp8_fp8 v[124:127], a[166:167], a[150:151], v[124:127]// 000000008D7C: D3F3007C 1DF32DA6
	v_mfma_f32_16x16x32_fp8_fp8 v[128:131], a[160:161], a[152:153], v[128:131]// 000000008D84: D3F30080 1E0331A0
	buffer_load_dword v84, s[20:23], 0 offen lds               // 000000008D8C: E0511000 80050054
	s_add_u32 m0, 0x1100, s49                                  // 000000008D94: 807C31FF 00001100
	v_mfma_f32_16x16x32_fp8_fp8 v[128:131], a[162:163], a[154:155], v[128:131]// 000000008D9C: D3F30080 1E0335A2
	s_add_u32 s60, 0x80, s80                                   // 000000008DA4: 803C50FF 00000080
	s_cmp_lt_u32 s60, s81                                      // 000000008DAC: BF0A513C
	s_cselect_b32 s83, s83, 0                                  // 000000008DB0: 85538053
	v_mfma_f32_16x16x32_fp8_fp8 v[128:131], a[164:165], a[156:157], v[128:131]// 000000008DB4: D3F30080 1E0339A4
	buffer_load_dword v85, s[20:23], 0 offen lds               // 000000008DBC: E0511000 80050055
	s_add_u32 m0, 0x1200, s49                                  // 000000008DC4: 807C31FF 00001200
	v_mfma_f32_16x16x32_fp8_fp8 v[128:131], a[166:167], a[158:159], v[128:131]// 000000008DCC: D3F30080 1E033DA6
	buffer_load_dword v86, s[20:23], 0 offen lds               // 000000008DD4: E0511000 80050056
	s_add_u32 m0, 0x1300, s49                                  // 000000008DDC: 807C31FF 00001300
	buffer_load_dword v87, s[20:23], 0 offen lds               // 000000008DE4: E0511000 80050057
	s_add_u32 m0, 0, s48                                       // 000000008DEC: 807C3080
	s_waitcnt vmcnt(20)                                        // 000000008DF0: BF8C4F74
	v_mfma_f32_16x16x32_fp8_fp8 v[132:135], a[168:169], a[80:81], v[132:135]// 000000008DF4: D3F30084 1E12A1A8
	buffer_load_dwordx4 a[160:163], v88, s[24:27], 0 offen     // 000000008DFC: E05C1000 8086A058
	v_mfma_f32_16x16x32_fp8_fp8 v[132:135], a[170:171], a[82:83], v[132:135]// 000000008E04: D3F30084 1E12A5AA
	v_mfma_f32_16x16x32_fp8_fp8 v[132:135], a[172:173], a[84:85], v[132:135]// 000000008E0C: D3F30084 1E12A9AC
	ds_read_b128 a[0:3], v2                                    // 000000008E14: DBFE0000 00000002
	ds_read_b128 a[4:7], v2 offset:64                          // 000000008E1C: DBFE0040 04000002
	v_mfma_f32_16x16x32_fp8_fp8 v[132:135], a[174:175], a[86:87], v[132:135]// 000000008E24: D3F30084 1E12ADAE
	v_mfma_f32_16x16x32_fp8_fp8 v[136:139], a[168:169], a[88:89], v[136:139]// 000000008E2C: D3F30088 1E22B1A8
	buffer_load_dwordx4 a[164:167], v88, s[24:27], 0 offen offset:1024// 000000008E34: E05C1400 8086A458
	v_mfma_f32_16x16x32_fp8_fp8 v[136:139], a[170:171], a[90:91], v[136:139]// 000000008E3C: D3F30088 1E22B5AA
	v_mfma_f32_16x16x32_fp8_fp8 v[136:139], a[172:173], a[92:93], v[136:139]// 000000008E44: D3F30088 1E22B9AC
	ds_read_b128 a[8:11], v2 offset:512                        // 000000008E4C: DBFE0200 08000002
	ds_read_b128 a[12:15], v2 offset:576                       // 000000008E54: DBFE0240 0C000002
	v_mfma_f32_16x16x32_fp8_fp8 v[136:139], a[174:175], a[94:95], v[136:139]// 000000008E5C: D3F30088 1E22BDAE
	v_mfma_f32_16x16x32_fp8_fp8 v[140:143], a[168:169], a[96:97], v[140:143]// 000000008E64: D3F3008C 1E32C1A8
	v_mfma_f32_16x16x32_fp8_fp8 v[140:143], a[170:171], a[98:99], v[140:143]// 000000008E6C: D3F3008C 1E32C5AA
	v_mfma_f32_16x16x32_fp8_fp8 v[140:143], a[172:173], a[100:101], v[140:143]// 000000008E74: D3F3008C 1E32C9AC
	ds_read_b128 a[16:19], v2 offset:1024                      // 000000008E7C: DBFE0400 10000002
	ds_read_b128 a[20:23], v2 offset:1088                      // 000000008E84: DBFE0440 14000002
	v_mfma_f32_16x16x32_fp8_fp8 v[140:143], a[174:175], a[102:103], v[140:143]// 000000008E8C: D3F3008C 1E32CDAE
	v_mfma_f32_16x16x32_fp8_fp8 v[144:147], a[168:169], a[104:105], v[144:147]// 000000008E94: D3F30090 1E42D1A8
	v_mfma_f32_16x16x32_fp8_fp8 v[144:147], a[170:171], a[106:107], v[144:147]// 000000008E9C: D3F30090 1E42D5AA
	v_mfma_f32_16x16x32_fp8_fp8 v[144:147], a[172:173], a[108:109], v[144:147]// 000000008EA4: D3F30090 1E42D9AC
	ds_read_b128 a[24:27], v2 offset:1536                      // 000000008EAC: DBFE0600 18000002
	ds_read_b128 a[28:31], v2 offset:1600                      // 000000008EB4: DBFE0640 1C000002
	v_mfma_f32_16x16x32_fp8_fp8 v[144:147], a[174:175], a[110:111], v[144:147]// 000000008EBC: D3F30090 1E42DDAE
	v_mfma_f32_16x16x32_fp8_fp8 v[148:151], a[168:169], a[112:113], v[148:151]// 000000008EC4: D3F30094 1E52E1A8
	v_mfma_f32_16x16x32_fp8_fp8 v[148:151], a[170:171], a[114:115], v[148:151]// 000000008ECC: D3F30094 1E52E5AA
	v_mfma_f32_16x16x32_fp8_fp8 v[148:151], a[172:173], a[116:117], v[148:151]// 000000008ED4: D3F30094 1E52E9AC
	ds_read_b128 a[32:35], v2 offset:2048                      // 000000008EDC: DBFE0800 20000002
	ds_read_b128 a[36:39], v2 offset:2112                      // 000000008EE4: DBFE0840 24000002
	v_mfma_f32_16x16x32_fp8_fp8 v[148:151], a[174:175], a[118:119], v[148:151]// 000000008EEC: D3F30094 1E52EDAE
	v_mfma_f32_16x16x32_fp8_fp8 v[152:155], a[168:169], a[120:121], v[152:155]// 000000008EF4: D3F30098 1E62F1A8
	v_mfma_f32_16x16x32_fp8_fp8 v[152:155], a[170:171], a[122:123], v[152:155]// 000000008EFC: D3F30098 1E62F5AA
	v_mfma_f32_16x16x32_fp8_fp8 v[152:155], a[172:173], a[124:125], v[152:155]// 000000008F04: D3F30098 1E62F9AC
	ds_read_b128 a[40:43], v2 offset:2560                      // 000000008F0C: DBFE0A00 28000002
	ds_read_b128 a[44:47], v2 offset:2624                      // 000000008F14: DBFE0A40 2C000002
	v_mfma_f32_16x16x32_fp8_fp8 v[152:155], a[174:175], a[126:127], v[152:155]// 000000008F1C: D3F30098 1E62FDAE
	v_mfma_f32_16x16x32_fp8_fp8 v[156:159], a[168:169], a[128:129], v[156:159]// 000000008F24: D3F3009C 1E7301A8
	v_mfma_f32_16x16x32_fp8_fp8 v[156:159], a[170:171], a[130:131], v[156:159]// 000000008F2C: D3F3009C 1E7305AA
	v_mfma_f32_16x16x32_fp8_fp8 v[156:159], a[172:173], a[132:133], v[156:159]// 000000008F34: D3F3009C 1E7309AC
	ds_read_b128 a[48:51], v2 offset:3072                      // 000000008F3C: DBFE0C00 30000002
	ds_read_b128 a[52:55], v2 offset:3136                      // 000000008F44: DBFE0C40 34000002
	v_mfma_f32_16x16x32_fp8_fp8 v[156:159], a[174:175], a[134:135], v[156:159]// 000000008F4C: D3F3009C 1E730DAE
	v_mfma_f32_16x16x32_fp8_fp8 v[160:163], a[168:169], a[136:137], v[160:163]// 000000008F54: D3F300A0 1E8311A8
	v_mfma_f32_16x16x32_fp8_fp8 v[160:163], a[170:171], a[138:139], v[160:163]// 000000008F5C: D3F300A0 1E8315AA
	v_mfma_f32_16x16x32_fp8_fp8 v[160:163], a[172:173], a[140:141], v[160:163]// 000000008F64: D3F300A0 1E8319AC
	ds_read_b128 a[56:59], v2 offset:3584                      // 000000008F6C: DBFE0E00 38000002
	ds_read_b128 a[60:63], v2 offset:3648                      // 000000008F74: DBFE0E40 3C000002
	v_mfma_f32_16x16x32_fp8_fp8 v[160:163], a[174:175], a[142:143], v[160:163]// 000000008F7C: D3F300A0 1E831DAE
	v_mfma_f32_16x16x32_fp8_fp8 v[164:167], a[168:169], a[144:145], v[164:167]// 000000008F84: D3F300A4 1E9321A8
	v_mfma_f32_16x16x32_fp8_fp8 v[164:167], a[170:171], a[146:147], v[164:167]// 000000008F8C: D3F300A4 1E9325AA
	v_mfma_f32_16x16x32_fp8_fp8 v[164:167], a[172:173], a[148:149], v[164:167]// 000000008F94: D3F300A4 1E9329AC
	ds_read_b128 a[64:67], v2 offset:4096                      // 000000008F9C: DBFE1000 40000002
	ds_read_b128 a[68:71], v2 offset:4160                      // 000000008FA4: DBFE1040 44000002
	s_add_u32 s60, 0x180, s80                                  // 000000008FAC: 803C50FF 00000180
	s_cmp_lt_u32 s60, s81                                      // 000000008FB4: BF0A513C
	s_cselect_b32 s57, s57, 0                                  // 000000008FB8: 85398039
	v_mfma_f32_16x16x32_fp8_fp8 v[164:167], a[174:175], a[150:151], v[164:167]// 000000008FBC: D3F300A4 1E932DAE
	s_add_u32 s60, 0x100, s80                                  // 000000008FC4: 803C50FF 00000100
	s_cmp_lt_u32 s60, s81                                      // 000000008FCC: BF0A513C
	s_cselect_b32 s58, s58, 0                                  // 000000008FD0: 853A803A
	v_mfma_f32_16x16x32_fp8_fp8 v[168:171], a[168:169], a[152:153], v[168:171]// 000000008FD4: D3F300A8 1EA331A8
	s_add_u32 s24, s58, s24                                    // 000000008FDC: 8018183A
	s_addc_u32 s25, 0, s25                                     // 000000008FE0: 82191980
	v_mfma_f32_16x16x32_fp8_fp8 v[168:171], a[170:171], a[154:155], v[168:171]// 000000008FE4: D3F300A8 1EA335AA
	s_add_u32 s20, s57, s20                                    // 000000008FEC: 80141439
	s_addc_u32 s21, 0, s21                                     // 000000008FF0: 82151580
	v_mfma_f32_16x16x32_fp8_fp8 v[168:171], a[172:173], a[156:157], v[168:171]// 000000008FF4: D3F300A8 1EA339AC
	ds_read_b128 a[72:75], v2 offset:4608                      // 000000008FFC: DBFE1200 48000002
	ds_read_b128 a[76:79], v2 offset:4672                      // 000000009004: DBFE1240 4C000002
	s_add_u32 s84, s83, s84                                    // 00000000900C: 80545453
	s_addc_u32 s85, 0, s85                                     // 000000009010: 82555580
	v_mfma_f32_16x16x32_fp8_fp8 v[168:171], a[174:175], a[158:159], v[168:171]// 000000009014: D3F300A8 1EA33DAE
	s_addk_i32 s80, 0x80                                       // 00000000901C: B7500080
	s_cmp_lt_i32 s80, s81                                      // 000000009020: BF045150
	s_cbranch_scc0 label_198E                                  // 000000009024: BF840001
	s_branch label_171F                                        // 000000009028: BF82FD91

000000000000902c <label_198E>:
	v_mul_f32_dpp v92, v24, v92 row_newbcast:0 row_mask:0xf bank_mask:0xf// 00000000902C: 0AB8B8FA FF015018
	v_mul_f32_dpp v93, v24, v93 row_newbcast:1 row_mask:0xf bank_mask:0xf// 000000009034: 0ABABAFA FF015118
	v_mul_f32_dpp v94, v24, v94 row_newbcast:2 row_mask:0xf bank_mask:0xf// 00000000903C: 0ABCBCFA FF015218
	v_mul_f32_dpp v95, v24, v95 row_newbcast:3 row_mask:0xf bank_mask:0xf// 000000009044: 0ABEBEFA FF015318
	v_mul_f32_dpp v96, v24, v96 row_newbcast:0 row_mask:0xf bank_mask:0xf// 00000000904C: 0AC0C0FA FF015018
	v_mul_f32_dpp v97, v24, v97 row_newbcast:1 row_mask:0xf bank_mask:0xf// 000000009054: 0AC2C2FA FF015118
	v_mul_f32_dpp v98, v24, v98 row_newbcast:2 row_mask:0xf bank_mask:0xf// 00000000905C: 0AC4C4FA FF015218
	v_mul_f32_dpp v99, v24, v99 row_newbcast:3 row_mask:0xf bank_mask:0xf// 000000009064: 0AC6C6FA FF015318
	v_mul_f32_dpp v100, v24, v100 row_newbcast:0 row_mask:0xf bank_mask:0xf// 00000000906C: 0AC8C8FA FF015018
	v_mul_f32_dpp v101, v24, v101 row_newbcast:1 row_mask:0xf bank_mask:0xf// 000000009074: 0ACACAFA FF015118
	v_mul_f32_dpp v102, v24, v102 row_newbcast:2 row_mask:0xf bank_mask:0xf// 00000000907C: 0ACCCCFA FF015218
	v_mul_f32_dpp v103, v24, v103 row_newbcast:3 row_mask:0xf bank_mask:0xf// 000000009084: 0ACECEFA FF015318
	v_mul_f32_dpp v104, v24, v104 row_newbcast:0 row_mask:0xf bank_mask:0xf// 00000000908C: 0AD0D0FA FF015018
	v_mul_f32_dpp v105, v24, v105 row_newbcast:1 row_mask:0xf bank_mask:0xf// 000000009094: 0AD2D2FA FF015118
	v_mul_f32_dpp v106, v24, v106 row_newbcast:2 row_mask:0xf bank_mask:0xf// 00000000909C: 0AD4D4FA FF015218
	v_mul_f32_dpp v107, v24, v107 row_newbcast:3 row_mask:0xf bank_mask:0xf// 0000000090A4: 0AD6D6FA FF015318
	v_mul_f32_dpp v108, v24, v108 row_newbcast:0 row_mask:0xf bank_mask:0xf// 0000000090AC: 0AD8D8FA FF015018
	v_mul_f32_dpp v109, v24, v109 row_newbcast:1 row_mask:0xf bank_mask:0xf// 0000000090B4: 0ADADAFA FF015118
	v_mul_f32_dpp v110, v24, v110 row_newbcast:2 row_mask:0xf bank_mask:0xf// 0000000090BC: 0ADCDCFA FF015218
	v_mul_f32_dpp v111, v24, v111 row_newbcast:3 row_mask:0xf bank_mask:0xf// 0000000090C4: 0ADEDEFA FF015318
	v_mul_f32_dpp v112, v24, v112 row_newbcast:0 row_mask:0xf bank_mask:0xf// 0000000090CC: 0AE0E0FA FF015018
	v_mul_f32_dpp v113, v24, v113 row_newbcast:1 row_mask:0xf bank_mask:0xf// 0000000090D4: 0AE2E2FA FF015118
	v_mul_f32_dpp v114, v24, v114 row_newbcast:2 row_mask:0xf bank_mask:0xf// 0000000090DC: 0AE4E4FA FF015218
	v_mul_f32_dpp v115, v24, v115 row_newbcast:3 row_mask:0xf bank_mask:0xf// 0000000090E4: 0AE6E6FA FF015318
	v_mul_f32_dpp v116, v24, v116 row_newbcast:0 row_mask:0xf bank_mask:0xf// 0000000090EC: 0AE8E8FA FF015018
	v_mul_f32_dpp v117, v24, v117 row_newbcast:1 row_mask:0xf bank_mask:0xf// 0000000090F4: 0AEAEAFA FF015118
	v_mul_f32_dpp v118, v24, v118 row_newbcast:2 row_mask:0xf bank_mask:0xf// 0000000090FC: 0AECECFA FF015218
	v_mul_f32_dpp v119, v24, v119 row_newbcast:3 row_mask:0xf bank_mask:0xf// 000000009104: 0AEEEEFA FF015318
	v_mul_f32_dpp v120, v24, v120 row_newbcast:0 row_mask:0xf bank_mask:0xf// 00000000910C: 0AF0F0FA FF015018
	v_mul_f32_dpp v121, v24, v121 row_newbcast:1 row_mask:0xf bank_mask:0xf// 000000009114: 0AF2F2FA FF015118
	v_mul_f32_dpp v122, v24, v122 row_newbcast:2 row_mask:0xf bank_mask:0xf// 00000000911C: 0AF4F4FA FF015218
	v_mul_f32_dpp v123, v24, v123 row_newbcast:3 row_mask:0xf bank_mask:0xf// 000000009124: 0AF6F6FA FF015318
	v_mul_f32_dpp v124, v24, v124 row_newbcast:0 row_mask:0xf bank_mask:0xf// 00000000912C: 0AF8F8FA FF015018
	v_mul_f32_dpp v125, v24, v125 row_newbcast:1 row_mask:0xf bank_mask:0xf// 000000009134: 0AFAFAFA FF015118
	v_mul_f32_dpp v126, v24, v126 row_newbcast:2 row_mask:0xf bank_mask:0xf// 00000000913C: 0AFCFCFA FF015218
	v_mul_f32_dpp v127, v24, v127 row_newbcast:3 row_mask:0xf bank_mask:0xf// 000000009144: 0AFEFEFA FF015318
	v_mul_f32_dpp v128, v24, v128 row_newbcast:0 row_mask:0xf bank_mask:0xf// 00000000914C: 0B0100FA FF015018
	v_mul_f32_dpp v129, v24, v129 row_newbcast:1 row_mask:0xf bank_mask:0xf// 000000009154: 0B0302FA FF015118
	v_mul_f32_dpp v130, v24, v130 row_newbcast:2 row_mask:0xf bank_mask:0xf// 00000000915C: 0B0504FA FF015218
	v_mul_f32_dpp v131, v24, v131 row_newbcast:3 row_mask:0xf bank_mask:0xf// 000000009164: 0B0706FA FF015318
	v_mul_f32_dpp v132, v26, v132 row_newbcast:0 row_mask:0xf bank_mask:0xf// 00000000916C: 0B0908FA FF01501A
	v_mul_f32_dpp v133, v26, v133 row_newbcast:1 row_mask:0xf bank_mask:0xf// 000000009174: 0B0B0AFA FF01511A
	v_mul_f32_dpp v134, v26, v134 row_newbcast:2 row_mask:0xf bank_mask:0xf// 00000000917C: 0B0D0CFA FF01521A
	v_mul_f32_dpp v135, v26, v135 row_newbcast:3 row_mask:0xf bank_mask:0xf// 000000009184: 0B0F0EFA FF01531A
	v_mul_f32_dpp v136, v26, v136 row_newbcast:0 row_mask:0xf bank_mask:0xf// 00000000918C: 0B1110FA FF01501A
	v_mul_f32_dpp v137, v26, v137 row_newbcast:1 row_mask:0xf bank_mask:0xf// 000000009194: 0B1312FA FF01511A
	v_mul_f32_dpp v138, v26, v138 row_newbcast:2 row_mask:0xf bank_mask:0xf// 00000000919C: 0B1514FA FF01521A
	v_mul_f32_dpp v139, v26, v139 row_newbcast:3 row_mask:0xf bank_mask:0xf// 0000000091A4: 0B1716FA FF01531A
	v_mul_f32_dpp v140, v26, v140 row_newbcast:0 row_mask:0xf bank_mask:0xf// 0000000091AC: 0B1918FA FF01501A
	v_mul_f32_dpp v141, v26, v141 row_newbcast:1 row_mask:0xf bank_mask:0xf// 0000000091B4: 0B1B1AFA FF01511A
	v_mul_f32_dpp v142, v26, v142 row_newbcast:2 row_mask:0xf bank_mask:0xf// 0000000091BC: 0B1D1CFA FF01521A
	v_mul_f32_dpp v143, v26, v143 row_newbcast:3 row_mask:0xf bank_mask:0xf// 0000000091C4: 0B1F1EFA FF01531A
	v_mul_f32_dpp v144, v26, v144 row_newbcast:0 row_mask:0xf bank_mask:0xf// 0000000091CC: 0B2120FA FF01501A
	v_mul_f32_dpp v145, v26, v145 row_newbcast:1 row_mask:0xf bank_mask:0xf// 0000000091D4: 0B2322FA FF01511A
	v_mul_f32_dpp v146, v26, v146 row_newbcast:2 row_mask:0xf bank_mask:0xf// 0000000091DC: 0B2524FA FF01521A
	v_mul_f32_dpp v147, v26, v147 row_newbcast:3 row_mask:0xf bank_mask:0xf// 0000000091E4: 0B2726FA FF01531A
	v_mul_f32_dpp v148, v26, v148 row_newbcast:0 row_mask:0xf bank_mask:0xf// 0000000091EC: 0B2928FA FF01501A
	v_mul_f32_dpp v149, v26, v149 row_newbcast:1 row_mask:0xf bank_mask:0xf// 0000000091F4: 0B2B2AFA FF01511A
	v_mul_f32_dpp v150, v26, v150 row_newbcast:2 row_mask:0xf bank_mask:0xf// 0000000091FC: 0B2D2CFA FF01521A
	v_mul_f32_dpp v151, v26, v151 row_newbcast:3 row_mask:0xf bank_mask:0xf// 000000009204: 0B2F2EFA FF01531A
	v_mul_f32_dpp v152, v26, v152 row_newbcast:0 row_mask:0xf bank_mask:0xf// 00000000920C: 0B3130FA FF01501A
	v_mul_f32_dpp v153, v26, v153 row_newbcast:1 row_mask:0xf bank_mask:0xf// 000000009214: 0B3332FA FF01511A
	v_mul_f32_dpp v154, v26, v154 row_newbcast:2 row_mask:0xf bank_mask:0xf// 00000000921C: 0B3534FA FF01521A
	v_mul_f32_dpp v155, v26, v155 row_newbcast:3 row_mask:0xf bank_mask:0xf// 000000009224: 0B3736FA FF01531A
	v_mul_f32_dpp v156, v26, v156 row_newbcast:0 row_mask:0xf bank_mask:0xf// 00000000922C: 0B3938FA FF01501A
	v_mul_f32_dpp v157, v26, v157 row_newbcast:1 row_mask:0xf bank_mask:0xf// 000000009234: 0B3B3AFA FF01511A
	v_mul_f32_dpp v158, v26, v158 row_newbcast:2 row_mask:0xf bank_mask:0xf// 00000000923C: 0B3D3CFA FF01521A
	v_mul_f32_dpp v159, v26, v159 row_newbcast:3 row_mask:0xf bank_mask:0xf// 000000009244: 0B3F3EFA FF01531A
	v_mul_f32_dpp v160, v26, v160 row_newbcast:0 row_mask:0xf bank_mask:0xf// 00000000924C: 0B4140FA FF01501A
	v_mul_f32_dpp v161, v26, v161 row_newbcast:1 row_mask:0xf bank_mask:0xf// 000000009254: 0B4342FA FF01511A
	v_mul_f32_dpp v162, v26, v162 row_newbcast:2 row_mask:0xf bank_mask:0xf// 00000000925C: 0B4544FA FF01521A
	v_mul_f32_dpp v163, v26, v163 row_newbcast:3 row_mask:0xf bank_mask:0xf// 000000009264: 0B4746FA FF01531A
	v_mul_f32_dpp v164, v26, v164 row_newbcast:0 row_mask:0xf bank_mask:0xf// 00000000926C: 0B4948FA FF01501A
	v_mul_f32_dpp v165, v26, v165 row_newbcast:1 row_mask:0xf bank_mask:0xf// 000000009274: 0B4B4AFA FF01511A
	v_mul_f32_dpp v166, v26, v166 row_newbcast:2 row_mask:0xf bank_mask:0xf// 00000000927C: 0B4D4CFA FF01521A
	v_mul_f32_dpp v167, v26, v167 row_newbcast:3 row_mask:0xf bank_mask:0xf// 000000009284: 0B4F4EFA FF01531A
	v_mul_f32_dpp v168, v26, v168 row_newbcast:0 row_mask:0xf bank_mask:0xf// 00000000928C: 0B5150FA FF01501A
	v_mul_f32_dpp v169, v26, v169 row_newbcast:1 row_mask:0xf bank_mask:0xf// 000000009294: 0B5352FA FF01511A
	v_mul_f32_dpp v170, v26, v170 row_newbcast:2 row_mask:0xf bank_mask:0xf// 00000000929C: 0B5554FA FF01521A
	v_mul_f32_dpp v171, v26, v171 row_newbcast:3 row_mask:0xf bank_mask:0xf// 0000000092A4: 0B5756FA FF01531A
	v_mov_b32_e32 v4, v38                                      // 0000000092AC: 7E080326
	v_mov_b32_e32 v5, v4                                       // 0000000092B0: 7E0A0304
	v_pk_mul_f32 v[92:93], v[4:5], v[92:93]                    // 0000000092B4: D3B1405C 1802B904
	v_pk_mul_f32 v[132:133], v[4:5], v[132:133]                // 0000000092BC: D3B14084 18030904
	v_pk_mul_f32 v[94:95], v[4:5], v[94:95]                    // 0000000092C4: D3B1405E 1802BD04
	v_pk_mul_f32 v[134:135], v[4:5], v[134:135]                // 0000000092CC: D3B14086 18030D04
	v_mov_b32_e32 v4, v39                                      // 0000000092D4: 7E080327
	v_mov_b32_e32 v5, v4                                       // 0000000092D8: 7E0A0304
	v_pk_mul_f32 v[96:97], v[4:5], v[96:97]                    // 0000000092DC: D3B14060 1802C104
	v_pk_mul_f32 v[136:137], v[4:5], v[136:137]                // 0000000092E4: D3B14088 18031104
	v_pk_mul_f32 v[98:99], v[4:5], v[98:99]                    // 0000000092EC: D3B14062 1802C504
	v_pk_mul_f32 v[138:139], v[4:5], v[138:139]                // 0000000092F4: D3B1408A 18031504
	v_mov_b32_e32 v4, v40                                      // 0000000092FC: 7E080328
	v_mov_b32_e32 v5, v4                                       // 000000009300: 7E0A0304
	v_pk_mul_f32 v[100:101], v[4:5], v[100:101]                // 000000009304: D3B14064 1802C904
	v_pk_mul_f32 v[140:141], v[4:5], v[140:141]                // 00000000930C: D3B1408C 18031904
	v_pk_mul_f32 v[102:103], v[4:5], v[102:103]                // 000000009314: D3B14066 1802CD04
	v_pk_mul_f32 v[142:143], v[4:5], v[142:143]                // 00000000931C: D3B1408E 18031D04
	v_mov_b32_e32 v4, v41                                      // 000000009324: 7E080329
	v_mov_b32_e32 v5, v4                                       // 000000009328: 7E0A0304
	v_pk_mul_f32 v[104:105], v[4:5], v[104:105]                // 00000000932C: D3B14068 1802D104
	v_pk_mul_f32 v[144:145], v[4:5], v[144:145]                // 000000009334: D3B14090 18032104
	v_pk_mul_f32 v[106:107], v[4:5], v[106:107]                // 00000000933C: D3B1406A 1802D504
	v_pk_mul_f32 v[146:147], v[4:5], v[146:147]                // 000000009344: D3B14092 18032504
	v_mov_b32_e32 v4, v42                                      // 00000000934C: 7E08032A
	v_mov_b32_e32 v5, v4                                       // 000000009350: 7E0A0304
	v_pk_mul_f32 v[108:109], v[4:5], v[108:109]                // 000000009354: D3B1406C 1802D904
	v_pk_mul_f32 v[148:149], v[4:5], v[148:149]                // 00000000935C: D3B14094 18032904
	v_pk_mul_f32 v[110:111], v[4:5], v[110:111]                // 000000009364: D3B1406E 1802DD04
	v_pk_mul_f32 v[150:151], v[4:5], v[150:151]                // 00000000936C: D3B14096 18032D04
	v_mov_b32_e32 v4, v43                                      // 000000009374: 7E08032B
	v_mov_b32_e32 v5, v4                                       // 000000009378: 7E0A0304
	v_pk_mul_f32 v[112:113], v[4:5], v[112:113]                // 00000000937C: D3B14070 1802E104
	v_pk_mul_f32 v[152:153], v[4:5], v[152:153]                // 000000009384: D3B14098 18033104
	v_pk_mul_f32 v[114:115], v[4:5], v[114:115]                // 00000000938C: D3B14072 1802E504
	v_pk_mul_f32 v[154:155], v[4:5], v[154:155]                // 000000009394: D3B1409A 18033504
	v_mov_b32_e32 v4, v44                                      // 00000000939C: 7E08032C
	v_mov_b32_e32 v5, v4                                       // 0000000093A0: 7E0A0304
	v_pk_mul_f32 v[116:117], v[4:5], v[116:117]                // 0000000093A4: D3B14074 1802E904
	v_pk_mul_f32 v[156:157], v[4:5], v[156:157]                // 0000000093AC: D3B1409C 18033904
	v_pk_mul_f32 v[118:119], v[4:5], v[118:119]                // 0000000093B4: D3B14076 1802ED04
	v_pk_mul_f32 v[158:159], v[4:5], v[158:159]                // 0000000093BC: D3B1409E 18033D04
	v_mov_b32_e32 v4, v45                                      // 0000000093C4: 7E08032D
	v_mov_b32_e32 v5, v4                                       // 0000000093C8: 7E0A0304
	v_pk_mul_f32 v[120:121], v[4:5], v[120:121]                // 0000000093CC: D3B14078 1802F104
	v_pk_mul_f32 v[160:161], v[4:5], v[160:161]                // 0000000093D4: D3B140A0 18034104
	v_pk_mul_f32 v[122:123], v[4:5], v[122:123]                // 0000000093DC: D3B1407A 1802F504
	v_pk_mul_f32 v[162:163], v[4:5], v[162:163]                // 0000000093E4: D3B140A2 18034504
	v_mov_b32_e32 v4, v46                                      // 0000000093EC: 7E08032E
	v_mov_b32_e32 v5, v4                                       // 0000000093F0: 7E0A0304
	v_pk_mul_f32 v[124:125], v[4:5], v[124:125]                // 0000000093F4: D3B1407C 1802F904
	v_pk_mul_f32 v[164:165], v[4:5], v[164:165]                // 0000000093FC: D3B140A4 18034904
	v_pk_mul_f32 v[126:127], v[4:5], v[126:127]                // 000000009404: D3B1407E 1802FD04
	v_pk_mul_f32 v[166:167], v[4:5], v[166:167]                // 00000000940C: D3B140A6 18034D04
	v_mov_b32_e32 v4, v47                                      // 000000009414: 7E08032F
	v_mov_b32_e32 v5, v4                                       // 000000009418: 7E0A0304
	v_pk_mul_f32 v[128:129], v[4:5], v[128:129]                // 00000000941C: D3B14080 18030104
	v_pk_mul_f32 v[168:169], v[4:5], v[168:169]                // 000000009424: D3B140A8 18035104
	v_pk_mul_f32 v[130:131], v[4:5], v[130:131]                // 00000000942C: D3B14082 18030504
	v_pk_mul_f32 v[170:171], v[4:5], v[170:171]                // 000000009434: D3B140AA 18035504
	s_cmp_eq_u32 s88, 0                                        // 00000000943C: BF068058
	s_cbranch_scc0 label_21F9                                  // 000000009440: BF840765
	s_cmp_eq_u32 s89, 0                                        // 000000009444: BF068059
	s_cbranch_scc1 label_1C2B                                  // 000000009448: BF850195
	v_mov_b32_e32 v8, v1                                       // 00000000944C: 7E100301
	v_mov_b32_e32 v9, v1                                       // 000000009450: 7E120301
	s_mov_b32 s60, s6                                          // 000000009454: BEBC0006
	s_mov_b32 s61, s6                                          // 000000009458: BEBD0006
	v_pk_mul_f32 v[4:5], v[92:93], v[92:93]                    // 00000000945C: D3B14004 1802B95C
	v_pk_mul_f32 v[6:7], v[94:95], v[94:95]                    // 000000009464: D3B14006 1802BD5E
	v_pk_fma_f32 v[4:5], v[4:5], s[78:79], v[8:9]              // 00000000946C: D3B04004 1C209D04
	v_pk_fma_f32 v[6:7], v[6:7], s[78:79], v[8:9]              // 000000009474: D3B04006 1C209D06
	v_pk_mul_f32 v[4:5], v[4:5], v[92:93]                      // 00000000947C: D3B14004 1802B904
	v_pk_mul_f32 v[6:7], v[6:7], v[94:95]                      // 000000009484: D3B14006 1802BD06
	v_pk_mul_f32 v[4:5], v[4:5], s[60:61]                      // 00000000948C: D3B14004 18007904
	v_pk_mul_f32 v[6:7], v[6:7], s[60:61]                      // 000000009494: D3B14006 18007906
	v_exp_f32_e32 v4, v4                                       // 00000000949C: 7E084104
	v_exp_f32_e32 v5, v5                                       // 0000000094A0: 7E0A4105
	v_exp_f32_e32 v6, v6                                       // 0000000094A4: 7E0C4106
	v_exp_f32_e32 v7, v7                                       // 0000000094A8: 7E0E4107
	v_add_f32_e64 v4, v4, 1.0                                  // 0000000094AC: D1010004 0001E504
	v_add_f32_e64 v5, v5, 1.0                                  // 0000000094B4: D1010005 0001E505
	v_add_f32_e64 v6, v6, 1.0                                  // 0000000094BC: D1010006 0001E506
	v_add_f32_e64 v7, v7, 1.0                                  // 0000000094C4: D1010007 0001E507
	v_rcp_f32_e32 v4, v4                                       // 0000000094CC: 7E084504
	v_rcp_f32_e32 v5, v5                                       // 0000000094D0: 7E0A4505
	v_rcp_f32_e32 v6, v6                                       // 0000000094D4: 7E0C4506
	v_rcp_f32_e32 v7, v7                                       // 0000000094D8: 7E0E4507
	v_mul_f32_e32 v92, v92, v4                                 // 0000000094DC: 0AB8095C
	v_mul_f32_e32 v93, v93, v5                                 // 0000000094E0: 0ABA0B5D
	v_mul_f32_e32 v94, v94, v6                                 // 0000000094E4: 0ABC0D5E
	v_mul_f32_e32 v95, v95, v7                                 // 0000000094E8: 0ABE0F5F
	v_mul_f32_e32 v92, v92, v132                               // 0000000094EC: 0AB9095C
	v_mul_f32_e32 v93, v93, v133                               // 0000000094F0: 0ABB0B5D
	v_mul_f32_e32 v94, v94, v134                               // 0000000094F4: 0ABD0D5E
	v_mul_f32_e32 v95, v95, v135                               // 0000000094F8: 0ABF0F5F
	v_pk_mul_f32 v[4:5], v[96:97], v[96:97]                    // 0000000094FC: D3B14004 1802C160
	v_pk_mul_f32 v[6:7], v[98:99], v[98:99]                    // 000000009504: D3B14006 1802C562
	v_pk_fma_f32 v[4:5], v[4:5], s[78:79], v[8:9]              // 00000000950C: D3B04004 1C209D04
	v_pk_fma_f32 v[6:7], v[6:7], s[78:79], v[8:9]              // 000000009514: D3B04006 1C209D06
	v_pk_mul_f32 v[4:5], v[4:5], v[96:97]                      // 00000000951C: D3B14004 1802C104
	v_pk_mul_f32 v[6:7], v[6:7], v[98:99]                      // 000000009524: D3B14006 1802C506
	v_pk_mul_f32 v[4:5], v[4:5], s[60:61]                      // 00000000952C: D3B14004 18007904
	v_pk_mul_f32 v[6:7], v[6:7], s[60:61]                      // 000000009534: D3B14006 18007906
	v_exp_f32_e32 v4, v4                                       // 00000000953C: 7E084104
	v_exp_f32_e32 v5, v5                                       // 000000009540: 7E0A4105
	v_exp_f32_e32 v6, v6                                       // 000000009544: 7E0C4106
	v_exp_f32_e32 v7, v7                                       // 000000009548: 7E0E4107
	v_add_f32_e64 v4, v4, 1.0                                  // 00000000954C: D1010004 0001E504
	v_add_f32_e64 v5, v5, 1.0                                  // 000000009554: D1010005 0001E505
	v_add_f32_e64 v6, v6, 1.0                                  // 00000000955C: D1010006 0001E506
	v_add_f32_e64 v7, v7, 1.0                                  // 000000009564: D1010007 0001E507
	v_rcp_f32_e32 v4, v4                                       // 00000000956C: 7E084504
	v_rcp_f32_e32 v5, v5                                       // 000000009570: 7E0A4505
	v_rcp_f32_e32 v6, v6                                       // 000000009574: 7E0C4506
	v_rcp_f32_e32 v7, v7                                       // 000000009578: 7E0E4507
	v_mul_f32_e32 v96, v96, v4                                 // 00000000957C: 0AC00960
	v_mul_f32_e32 v97, v97, v5                                 // 000000009580: 0AC20B61
	v_mul_f32_e32 v98, v98, v6                                 // 000000009584: 0AC40D62
	v_mul_f32_e32 v99, v99, v7                                 // 000000009588: 0AC60F63
	v_mul_f32_e32 v96, v96, v136                               // 00000000958C: 0AC11160
	v_mul_f32_e32 v97, v97, v137                               // 000000009590: 0AC31361
	v_mul_f32_e32 v98, v98, v138                               // 000000009594: 0AC51562
	v_mul_f32_e32 v99, v99, v139                               // 000000009598: 0AC71763
	v_pk_mul_f32 v[4:5], v[100:101], v[100:101]                // 00000000959C: D3B14004 1802C964
	v_pk_mul_f32 v[6:7], v[102:103], v[102:103]                // 0000000095A4: D3B14006 1802CD66
	v_pk_fma_f32 v[4:5], v[4:5], s[78:79], v[8:9]              // 0000000095AC: D3B04004 1C209D04
	v_pk_fma_f32 v[6:7], v[6:7], s[78:79], v[8:9]              // 0000000095B4: D3B04006 1C209D06
	v_pk_mul_f32 v[4:5], v[4:5], v[100:101]                    // 0000000095BC: D3B14004 1802C904
	v_pk_mul_f32 v[6:7], v[6:7], v[102:103]                    // 0000000095C4: D3B14006 1802CD06
	v_pk_mul_f32 v[4:5], v[4:5], s[60:61]                      // 0000000095CC: D3B14004 18007904
	v_pk_mul_f32 v[6:7], v[6:7], s[60:61]                      // 0000000095D4: D3B14006 18007906
	v_exp_f32_e32 v4, v4                                       // 0000000095DC: 7E084104
	v_exp_f32_e32 v5, v5                                       // 0000000095E0: 7E0A4105
	v_exp_f32_e32 v6, v6                                       // 0000000095E4: 7E0C4106
	v_exp_f32_e32 v7, v7                                       // 0000000095E8: 7E0E4107
	v_add_f32_e64 v4, v4, 1.0                                  // 0000000095EC: D1010004 0001E504
	v_add_f32_e64 v5, v5, 1.0                                  // 0000000095F4: D1010005 0001E505
	v_add_f32_e64 v6, v6, 1.0                                  // 0000000095FC: D1010006 0001E506
	v_add_f32_e64 v7, v7, 1.0                                  // 000000009604: D1010007 0001E507
	v_rcp_f32_e32 v4, v4                                       // 00000000960C: 7E084504
	v_rcp_f32_e32 v5, v5                                       // 000000009610: 7E0A4505
	v_rcp_f32_e32 v6, v6                                       // 000000009614: 7E0C4506
	v_rcp_f32_e32 v7, v7                                       // 000000009618: 7E0E4507
	v_mul_f32_e32 v100, v100, v4                               // 00000000961C: 0AC80964
	v_mul_f32_e32 v101, v101, v5                               // 000000009620: 0ACA0B65
	v_mul_f32_e32 v102, v102, v6                               // 000000009624: 0ACC0D66
	v_mul_f32_e32 v103, v103, v7                               // 000000009628: 0ACE0F67
	v_mul_f32_e32 v100, v100, v140                             // 00000000962C: 0AC91964
	v_mul_f32_e32 v101, v101, v141                             // 000000009630: 0ACB1B65
	v_mul_f32_e32 v102, v102, v142                             // 000000009634: 0ACD1D66
	v_mul_f32_e32 v103, v103, v143                             // 000000009638: 0ACF1F67
	v_pk_mul_f32 v[4:5], v[104:105], v[104:105]                // 00000000963C: D3B14004 1802D168
	v_pk_mul_f32 v[6:7], v[106:107], v[106:107]                // 000000009644: D3B14006 1802D56A
	v_pk_fma_f32 v[4:5], v[4:5], s[78:79], v[8:9]              // 00000000964C: D3B04004 1C209D04
	v_pk_fma_f32 v[6:7], v[6:7], s[78:79], v[8:9]              // 000000009654: D3B04006 1C209D06
	v_pk_mul_f32 v[4:5], v[4:5], v[104:105]                    // 00000000965C: D3B14004 1802D104
	v_pk_mul_f32 v[6:7], v[6:7], v[106:107]                    // 000000009664: D3B14006 1802D506
	v_pk_mul_f32 v[4:5], v[4:5], s[60:61]                      // 00000000966C: D3B14004 18007904
	v_pk_mul_f32 v[6:7], v[6:7], s[60:61]                      // 000000009674: D3B14006 18007906
	v_exp_f32_e32 v4, v4                                       // 00000000967C: 7E084104
	v_exp_f32_e32 v5, v5                                       // 000000009680: 7E0A4105
	v_exp_f32_e32 v6, v6                                       // 000000009684: 7E0C4106
	v_exp_f32_e32 v7, v7                                       // 000000009688: 7E0E4107
	v_add_f32_e64 v4, v4, 1.0                                  // 00000000968C: D1010004 0001E504
	v_add_f32_e64 v5, v5, 1.0                                  // 000000009694: D1010005 0001E505
	v_add_f32_e64 v6, v6, 1.0                                  // 00000000969C: D1010006 0001E506
	v_add_f32_e64 v7, v7, 1.0                                  // 0000000096A4: D1010007 0001E507
	v_rcp_f32_e32 v4, v4                                       // 0000000096AC: 7E084504
	v_rcp_f32_e32 v5, v5                                       // 0000000096B0: 7E0A4505
	v_rcp_f32_e32 v6, v6                                       // 0000000096B4: 7E0C4506
	v_rcp_f32_e32 v7, v7                                       // 0000000096B8: 7E0E4507
	v_mul_f32_e32 v104, v104, v4                               // 0000000096BC: 0AD00968
	v_mul_f32_e32 v105, v105, v5                               // 0000000096C0: 0AD20B69
	v_mul_f32_e32 v106, v106, v6                               // 0000000096C4: 0AD40D6A
	v_mul_f32_e32 v107, v107, v7                               // 0000000096C8: 0AD60F6B
	v_mul_f32_e32 v104, v104, v144                             // 0000000096CC: 0AD12168
	v_mul_f32_e32 v105, v105, v145                             // 0000000096D0: 0AD32369
	v_mul_f32_e32 v106, v106, v146                             // 0000000096D4: 0AD5256A
	v_mul_f32_e32 v107, v107, v147                             // 0000000096D8: 0AD7276B
	v_pk_mul_f32 v[4:5], v[108:109], v[108:109]                // 0000000096DC: D3B14004 1802D96C
	v_pk_mul_f32 v[6:7], v[110:111], v[110:111]                // 0000000096E4: D3B14006 1802DD6E
	v_pk_fma_f32 v[4:5], v[4:5], s[78:79], v[8:9]              // 0000000096EC: D3B04004 1C209D04
	v_pk_fma_f32 v[6:7], v[6:7], s[78:79], v[8:9]              // 0000000096F4: D3B04006 1C209D06
	v_pk_mul_f32 v[4:5], v[4:5], v[108:109]                    // 0000000096FC: D3B14004 1802D904
	v_pk_mul_f32 v[6:7], v[6:7], v[110:111]                    // 000000009704: D3B14006 1802DD06
	v_pk_mul_f32 v[4:5], v[4:5], s[60:61]                      // 00000000970C: D3B14004 18007904
	v_pk_mul_f32 v[6:7], v[6:7], s[60:61]                      // 000000009714: D3B14006 18007906
	v_exp_f32_e32 v4, v4                                       // 00000000971C: 7E084104
	v_exp_f32_e32 v5, v5                                       // 000000009720: 7E0A4105
	v_exp_f32_e32 v6, v6                                       // 000000009724: 7E0C4106
	v_exp_f32_e32 v7, v7                                       // 000000009728: 7E0E4107
	v_add_f32_e64 v4, v4, 1.0                                  // 00000000972C: D1010004 0001E504
	v_add_f32_e64 v5, v5, 1.0                                  // 000000009734: D1010005 0001E505
	v_add_f32_e64 v6, v6, 1.0                                  // 00000000973C: D1010006 0001E506
	v_add_f32_e64 v7, v7, 1.0                                  // 000000009744: D1010007 0001E507
	v_rcp_f32_e32 v4, v4                                       // 00000000974C: 7E084504
	v_rcp_f32_e32 v5, v5                                       // 000000009750: 7E0A4505
	v_rcp_f32_e32 v6, v6                                       // 000000009754: 7E0C4506
	v_rcp_f32_e32 v7, v7                                       // 000000009758: 7E0E4507
	v_mul_f32_e32 v108, v108, v4                               // 00000000975C: 0AD8096C
	v_mul_f32_e32 v109, v109, v5                               // 000000009760: 0ADA0B6D
	v_mul_f32_e32 v110, v110, v6                               // 000000009764: 0ADC0D6E
	v_mul_f32_e32 v111, v111, v7                               // 000000009768: 0ADE0F6F
	v_mul_f32_e32 v108, v108, v148                             // 00000000976C: 0AD9296C
	v_mul_f32_e32 v109, v109, v149                             // 000000009770: 0ADB2B6D
	v_mul_f32_e32 v110, v110, v150                             // 000000009774: 0ADD2D6E
	v_mul_f32_e32 v111, v111, v151                             // 000000009778: 0ADF2F6F
	v_pk_mul_f32 v[4:5], v[112:113], v[112:113]                // 00000000977C: D3B14004 1802E170
	v_pk_mul_f32 v[6:7], v[114:115], v[114:115]                // 000000009784: D3B14006 1802E572
	v_pk_fma_f32 v[4:5], v[4:5], s[78:79], v[8:9]              // 00000000978C: D3B04004 1C209D04
	v_pk_fma_f32 v[6:7], v[6:7], s[78:79], v[8:9]              // 000000009794: D3B04006 1C209D06
	v_pk_mul_f32 v[4:5], v[4:5], v[112:113]                    // 00000000979C: D3B14004 1802E104
	v_pk_mul_f32 v[6:7], v[6:7], v[114:115]                    // 0000000097A4: D3B14006 1802E506
	v_pk_mul_f32 v[4:5], v[4:5], s[60:61]                      // 0000000097AC: D3B14004 18007904
	v_pk_mul_f32 v[6:7], v[6:7], s[60:61]                      // 0000000097B4: D3B14006 18007906
	v_exp_f32_e32 v4, v4                                       // 0000000097BC: 7E084104
	v_exp_f32_e32 v5, v5                                       // 0000000097C0: 7E0A4105
	v_exp_f32_e32 v6, v6                                       // 0000000097C4: 7E0C4106
	v_exp_f32_e32 v7, v7                                       // 0000000097C8: 7E0E4107
	v_add_f32_e64 v4, v4, 1.0                                  // 0000000097CC: D1010004 0001E504
	v_add_f32_e64 v5, v5, 1.0                                  // 0000000097D4: D1010005 0001E505
	v_add_f32_e64 v6, v6, 1.0                                  // 0000000097DC: D1010006 0001E506
	v_add_f32_e64 v7, v7, 1.0                                  // 0000000097E4: D1010007 0001E507
	v_rcp_f32_e32 v4, v4                                       // 0000000097EC: 7E084504
	v_rcp_f32_e32 v5, v5                                       // 0000000097F0: 7E0A4505
	v_rcp_f32_e32 v6, v6                                       // 0000000097F4: 7E0C4506
	v_rcp_f32_e32 v7, v7                                       // 0000000097F8: 7E0E4507
	v_mul_f32_e32 v112, v112, v4                               // 0000000097FC: 0AE00970
	v_mul_f32_e32 v113, v113, v5                               // 000000009800: 0AE20B71
	v_mul_f32_e32 v114, v114, v6                               // 000000009804: 0AE40D72
	v_mul_f32_e32 v115, v115, v7                               // 000000009808: 0AE60F73
	v_mul_f32_e32 v112, v112, v152                             // 00000000980C: 0AE13170
	v_mul_f32_e32 v113, v113, v153                             // 000000009810: 0AE33371
	v_mul_f32_e32 v114, v114, v154                             // 000000009814: 0AE53572
	v_mul_f32_e32 v115, v115, v155                             // 000000009818: 0AE73773
	v_pk_mul_f32 v[4:5], v[116:117], v[116:117]                // 00000000981C: D3B14004 1802E974
	v_pk_mul_f32 v[6:7], v[118:119], v[118:119]                // 000000009824: D3B14006 1802ED76
	v_pk_fma_f32 v[4:5], v[4:5], s[78:79], v[8:9]              // 00000000982C: D3B04004 1C209D04
	v_pk_fma_f32 v[6:7], v[6:7], s[78:79], v[8:9]              // 000000009834: D3B04006 1C209D06
	v_pk_mul_f32 v[4:5], v[4:5], v[116:117]                    // 00000000983C: D3B14004 1802E904
	v_pk_mul_f32 v[6:7], v[6:7], v[118:119]                    // 000000009844: D3B14006 1802ED06
	v_pk_mul_f32 v[4:5], v[4:5], s[60:61]                      // 00000000984C: D3B14004 18007904
	v_pk_mul_f32 v[6:7], v[6:7], s[60:61]                      // 000000009854: D3B14006 18007906
	v_exp_f32_e32 v4, v4                                       // 00000000985C: 7E084104
	v_exp_f32_e32 v5, v5                                       // 000000009860: 7E0A4105
	v_exp_f32_e32 v6, v6                                       // 000000009864: 7E0C4106
	v_exp_f32_e32 v7, v7                                       // 000000009868: 7E0E4107
	v_add_f32_e64 v4, v4, 1.0                                  // 00000000986C: D1010004 0001E504
	v_add_f32_e64 v5, v5, 1.0                                  // 000000009874: D1010005 0001E505
	v_add_f32_e64 v6, v6, 1.0                                  // 00000000987C: D1010006 0001E506
	v_add_f32_e64 v7, v7, 1.0                                  // 000000009884: D1010007 0001E507
	v_rcp_f32_e32 v4, v4                                       // 00000000988C: 7E084504
	v_rcp_f32_e32 v5, v5                                       // 000000009890: 7E0A4505
	v_rcp_f32_e32 v6, v6                                       // 000000009894: 7E0C4506
	v_rcp_f32_e32 v7, v7                                       // 000000009898: 7E0E4507
	v_mul_f32_e32 v116, v116, v4                               // 00000000989C: 0AE80974
	v_mul_f32_e32 v117, v117, v5                               // 0000000098A0: 0AEA0B75
	v_mul_f32_e32 v118, v118, v6                               // 0000000098A4: 0AEC0D76
	v_mul_f32_e32 v119, v119, v7                               // 0000000098A8: 0AEE0F77
	v_mul_f32_e32 v116, v116, v156                             // 0000000098AC: 0AE93974
	v_mul_f32_e32 v117, v117, v157                             // 0000000098B0: 0AEB3B75
	v_mul_f32_e32 v118, v118, v158                             // 0000000098B4: 0AED3D76
	v_mul_f32_e32 v119, v119, v159                             // 0000000098B8: 0AEF3F77
	v_pk_mul_f32 v[4:5], v[120:121], v[120:121]                // 0000000098BC: D3B14004 1802F178
	v_pk_mul_f32 v[6:7], v[122:123], v[122:123]                // 0000000098C4: D3B14006 1802F57A
	v_pk_fma_f32 v[4:5], v[4:5], s[78:79], v[8:9]              // 0000000098CC: D3B04004 1C209D04
	v_pk_fma_f32 v[6:7], v[6:7], s[78:79], v[8:9]              // 0000000098D4: D3B04006 1C209D06
	v_pk_mul_f32 v[4:5], v[4:5], v[120:121]                    // 0000000098DC: D3B14004 1802F104
	v_pk_mul_f32 v[6:7], v[6:7], v[122:123]                    // 0000000098E4: D3B14006 1802F506
	v_pk_mul_f32 v[4:5], v[4:5], s[60:61]                      // 0000000098EC: D3B14004 18007904
	v_pk_mul_f32 v[6:7], v[6:7], s[60:61]                      // 0000000098F4: D3B14006 18007906
	v_exp_f32_e32 v4, v4                                       // 0000000098FC: 7E084104
	v_exp_f32_e32 v5, v5                                       // 000000009900: 7E0A4105
	v_exp_f32_e32 v6, v6                                       // 000000009904: 7E0C4106
	v_exp_f32_e32 v7, v7                                       // 000000009908: 7E0E4107
	v_add_f32_e64 v4, v4, 1.0                                  // 00000000990C: D1010004 0001E504
	v_add_f32_e64 v5, v5, 1.0                                  // 000000009914: D1010005 0001E505
	v_add_f32_e64 v6, v6, 1.0                                  // 00000000991C: D1010006 0001E506
	v_add_f32_e64 v7, v7, 1.0                                  // 000000009924: D1010007 0001E507
	v_rcp_f32_e32 v4, v4                                       // 00000000992C: 7E084504
	v_rcp_f32_e32 v5, v5                                       // 000000009930: 7E0A4505
	v_rcp_f32_e32 v6, v6                                       // 000000009934: 7E0C4506
	v_rcp_f32_e32 v7, v7                                       // 000000009938: 7E0E4507
	v_mul_f32_e32 v120, v120, v4                               // 00000000993C: 0AF00978
	v_mul_f32_e32 v121, v121, v5                               // 000000009940: 0AF20B79
	v_mul_f32_e32 v122, v122, v6                               // 000000009944: 0AF40D7A
	v_mul_f32_e32 v123, v123, v7                               // 000000009948: 0AF60F7B
	v_mul_f32_e32 v120, v120, v160                             // 00000000994C: 0AF14178
	v_mul_f32_e32 v121, v121, v161                             // 000000009950: 0AF34379
	v_mul_f32_e32 v122, v122, v162                             // 000000009954: 0AF5457A
	v_mul_f32_e32 v123, v123, v163                             // 000000009958: 0AF7477B
	v_pk_mul_f32 v[4:5], v[124:125], v[124:125]                // 00000000995C: D3B14004 1802F97C
	v_pk_mul_f32 v[6:7], v[126:127], v[126:127]                // 000000009964: D3B14006 1802FD7E
	v_pk_fma_f32 v[4:5], v[4:5], s[78:79], v[8:9]              // 00000000996C: D3B04004 1C209D04
	v_pk_fma_f32 v[6:7], v[6:7], s[78:79], v[8:9]              // 000000009974: D3B04006 1C209D06
	v_pk_mul_f32 v[4:5], v[4:5], v[124:125]                    // 00000000997C: D3B14004 1802F904
	v_pk_mul_f32 v[6:7], v[6:7], v[126:127]                    // 000000009984: D3B14006 1802FD06
	v_pk_mul_f32 v[4:5], v[4:5], s[60:61]                      // 00000000998C: D3B14004 18007904
	v_pk_mul_f32 v[6:7], v[6:7], s[60:61]                      // 000000009994: D3B14006 18007906
	v_exp_f32_e32 v4, v4                                       // 00000000999C: 7E084104
	v_exp_f32_e32 v5, v5                                       // 0000000099A0: 7E0A4105
	v_exp_f32_e32 v6, v6                                       // 0000000099A4: 7E0C4106
	v_exp_f32_e32 v7, v7                                       // 0000000099A8: 7E0E4107
	v_add_f32_e64 v4, v4, 1.0                                  // 0000000099AC: D1010004 0001E504
	v_add_f32_e64 v5, v5, 1.0                                  // 0000000099B4: D1010005 0001E505
	v_add_f32_e64 v6, v6, 1.0                                  // 0000000099BC: D1010006 0001E506
	v_add_f32_e64 v7, v7, 1.0                                  // 0000000099C4: D1010007 0001E507
	v_rcp_f32_e32 v4, v4                                       // 0000000099CC: 7E084504
	v_rcp_f32_e32 v5, v5                                       // 0000000099D0: 7E0A4505
	v_rcp_f32_e32 v6, v6                                       // 0000000099D4: 7E0C4506
	v_rcp_f32_e32 v7, v7                                       // 0000000099D8: 7E0E4507
	v_mul_f32_e32 v124, v124, v4                               // 0000000099DC: 0AF8097C
	v_mul_f32_e32 v125, v125, v5                               // 0000000099E0: 0AFA0B7D
	v_mul_f32_e32 v126, v126, v6                               // 0000000099E4: 0AFC0D7E
	v_mul_f32_e32 v127, v127, v7                               // 0000000099E8: 0AFE0F7F
	v_mul_f32_e32 v124, v124, v164                             // 0000000099EC: 0AF9497C
	v_mul_f32_e32 v125, v125, v165                             // 0000000099F0: 0AFB4B7D
	v_mul_f32_e32 v126, v126, v166                             // 0000000099F4: 0AFD4D7E
	v_mul_f32_e32 v127, v127, v167                             // 0000000099F8: 0AFF4F7F
	v_pk_mul_f32 v[4:5], v[128:129], v[128:129]                // 0000000099FC: D3B14004 18030180
	v_pk_mul_f32 v[6:7], v[130:131], v[130:131]                // 000000009A04: D3B14006 18030582
	v_pk_fma_f32 v[4:5], v[4:5], s[78:79], v[8:9]              // 000000009A0C: D3B04004 1C209D04
	v_pk_fma_f32 v[6:7], v[6:7], s[78:79], v[8:9]              // 000000009A14: D3B04006 1C209D06
	v_pk_mul_f32 v[4:5], v[4:5], v[128:129]                    // 000000009A1C: D3B14004 18030104
	v_pk_mul_f32 v[6:7], v[6:7], v[130:131]                    // 000000009A24: D3B14006 18030506
	v_pk_mul_f32 v[4:5], v[4:5], s[60:61]                      // 000000009A2C: D3B14004 18007904
	v_pk_mul_f32 v[6:7], v[6:7], s[60:61]                      // 000000009A34: D3B14006 18007906
	v_exp_f32_e32 v4, v4                                       // 000000009A3C: 7E084104
	v_exp_f32_e32 v5, v5                                       // 000000009A40: 7E0A4105
	v_exp_f32_e32 v6, v6                                       // 000000009A44: 7E0C4106
	v_exp_f32_e32 v7, v7                                       // 000000009A48: 7E0E4107
	v_add_f32_e64 v4, v4, 1.0                                  // 000000009A4C: D1010004 0001E504
	v_add_f32_e64 v5, v5, 1.0                                  // 000000009A54: D1010005 0001E505
	v_add_f32_e64 v6, v6, 1.0                                  // 000000009A5C: D1010006 0001E506
	v_add_f32_e64 v7, v7, 1.0                                  // 000000009A64: D1010007 0001E507
	v_rcp_f32_e32 v4, v4                                       // 000000009A6C: 7E084504
	v_rcp_f32_e32 v5, v5                                       // 000000009A70: 7E0A4505
	v_rcp_f32_e32 v6, v6                                       // 000000009A74: 7E0C4506
	v_rcp_f32_e32 v7, v7                                       // 000000009A78: 7E0E4507
	v_mul_f32_e32 v128, v128, v4                               // 000000009A7C: 0B000980
	v_mul_f32_e32 v129, v129, v5                               // 000000009A80: 0B020B81
	v_mul_f32_e32 v130, v130, v6                               // 000000009A84: 0B040D82
	v_mul_f32_e32 v131, v131, v7                               // 000000009A88: 0B060F83
	v_mul_f32_e32 v128, v128, v168                             // 000000009A8C: 0B015180
	v_mul_f32_e32 v129, v129, v169                             // 000000009A90: 0B035381
	v_mul_f32_e32 v130, v130, v170                             // 000000009A94: 0B055582
	v_mul_f32_e32 v131, v131, v171                             // 000000009A98: 0B075783
	s_branch label_1D6B                                        // 000000009A9C: BF820140

0000000000009aa0 <label_1C2B>:
	v_mul_f32_e64 v4, -v92, s6                                 // 000000009AA0: D1050004 20000D5C
	v_mul_f32_e64 v5, -v93, s6                                 // 000000009AA8: D1050005 20000D5D
	v_mul_f32_e64 v6, -v94, s6                                 // 000000009AB0: D1050006 20000D5E
	v_mul_f32_e64 v7, -v95, s6                                 // 000000009AB8: D1050007 20000D5F
	v_exp_f32_e32 v4, v4                                       // 000000009AC0: 7E084104
	v_exp_f32_e32 v5, v5                                       // 000000009AC4: 7E0A4105
	v_exp_f32_e32 v6, v6                                       // 000000009AC8: 7E0C4106
	v_exp_f32_e32 v7, v7                                       // 000000009ACC: 7E0E4107
	v_add_f32_e64 v4, v4, 1.0                                  // 000000009AD0: D1010004 0001E504
	v_add_f32_e64 v5, v5, 1.0                                  // 000000009AD8: D1010005 0001E505
	v_add_f32_e64 v6, v6, 1.0                                  // 000000009AE0: D1010006 0001E506
	v_add_f32_e64 v7, v7, 1.0                                  // 000000009AE8: D1010007 0001E507
	v_rcp_f32_e32 v4, v4                                       // 000000009AF0: 7E084504
	v_rcp_f32_e32 v5, v5                                       // 000000009AF4: 7E0A4505
	v_rcp_f32_e32 v6, v6                                       // 000000009AF8: 7E0C4506
	v_rcp_f32_e32 v7, v7                                       // 000000009AFC: 7E0E4507
	v_mul_f32_e32 v92, v92, v4                                 // 000000009B00: 0AB8095C
	v_mul_f32_e32 v93, v93, v5                                 // 000000009B04: 0ABA0B5D
	v_mul_f32_e32 v94, v94, v6                                 // 000000009B08: 0ABC0D5E
	v_mul_f32_e32 v95, v95, v7                                 // 000000009B0C: 0ABE0F5F
	v_mul_f32_e32 v92, v92, v132                               // 000000009B10: 0AB9095C
	v_mul_f32_e32 v93, v93, v133                               // 000000009B14: 0ABB0B5D
	v_mul_f32_e32 v94, v94, v134                               // 000000009B18: 0ABD0D5E
	v_mul_f32_e32 v95, v95, v135                               // 000000009B1C: 0ABF0F5F
	v_mul_f32_e64 v4, -v96, s6                                 // 000000009B20: D1050004 20000D60
	v_mul_f32_e64 v5, -v97, s6                                 // 000000009B28: D1050005 20000D61
	v_mul_f32_e64 v6, -v98, s6                                 // 000000009B30: D1050006 20000D62
	v_mul_f32_e64 v7, -v99, s6                                 // 000000009B38: D1050007 20000D63
	v_exp_f32_e32 v4, v4                                       // 000000009B40: 7E084104
	v_exp_f32_e32 v5, v5                                       // 000000009B44: 7E0A4105
	v_exp_f32_e32 v6, v6                                       // 000000009B48: 7E0C4106
	v_exp_f32_e32 v7, v7                                       // 000000009B4C: 7E0E4107
	v_add_f32_e64 v4, v4, 1.0                                  // 000000009B50: D1010004 0001E504
	v_add_f32_e64 v5, v5, 1.0                                  // 000000009B58: D1010005 0001E505
	v_add_f32_e64 v6, v6, 1.0                                  // 000000009B60: D1010006 0001E506
	v_add_f32_e64 v7, v7, 1.0                                  // 000000009B68: D1010007 0001E507
	v_rcp_f32_e32 v4, v4                                       // 000000009B70: 7E084504
	v_rcp_f32_e32 v5, v5                                       // 000000009B74: 7E0A4505
	v_rcp_f32_e32 v6, v6                                       // 000000009B78: 7E0C4506
	v_rcp_f32_e32 v7, v7                                       // 000000009B7C: 7E0E4507
	v_mul_f32_e32 v96, v96, v4                                 // 000000009B80: 0AC00960
	v_mul_f32_e32 v97, v97, v5                                 // 000000009B84: 0AC20B61
	v_mul_f32_e32 v98, v98, v6                                 // 000000009B88: 0AC40D62
	v_mul_f32_e32 v99, v99, v7                                 // 000000009B8C: 0AC60F63
	v_mul_f32_e32 v96, v96, v136                               // 000000009B90: 0AC11160
	v_mul_f32_e32 v97, v97, v137                               // 000000009B94: 0AC31361
	v_mul_f32_e32 v98, v98, v138                               // 000000009B98: 0AC51562
	v_mul_f32_e32 v99, v99, v139                               // 000000009B9C: 0AC71763
	v_mul_f32_e64 v4, -v100, s6                                // 000000009BA0: D1050004 20000D64
	v_mul_f32_e64 v5, -v101, s6                                // 000000009BA8: D1050005 20000D65
	v_mul_f32_e64 v6, -v102, s6                                // 000000009BB0: D1050006 20000D66
	v_mul_f32_e64 v7, -v103, s6                                // 000000009BB8: D1050007 20000D67
	v_exp_f32_e32 v4, v4                                       // 000000009BC0: 7E084104
	v_exp_f32_e32 v5, v5                                       // 000000009BC4: 7E0A4105
	v_exp_f32_e32 v6, v6                                       // 000000009BC8: 7E0C4106
	v_exp_f32_e32 v7, v7                                       // 000000009BCC: 7E0E4107
	v_add_f32_e64 v4, v4, 1.0                                  // 000000009BD0: D1010004 0001E504
	v_add_f32_e64 v5, v5, 1.0                                  // 000000009BD8: D1010005 0001E505
	v_add_f32_e64 v6, v6, 1.0                                  // 000000009BE0: D1010006 0001E506
	v_add_f32_e64 v7, v7, 1.0                                  // 000000009BE8: D1010007 0001E507
	v_rcp_f32_e32 v4, v4                                       // 000000009BF0: 7E084504
	v_rcp_f32_e32 v5, v5                                       // 000000009BF4: 7E0A4505
	v_rcp_f32_e32 v6, v6                                       // 000000009BF8: 7E0C4506
	v_rcp_f32_e32 v7, v7                                       // 000000009BFC: 7E0E4507
	v_mul_f32_e32 v100, v100, v4                               // 000000009C00: 0AC80964
	v_mul_f32_e32 v101, v101, v5                               // 000000009C04: 0ACA0B65
	v_mul_f32_e32 v102, v102, v6                               // 000000009C08: 0ACC0D66
	v_mul_f32_e32 v103, v103, v7                               // 000000009C0C: 0ACE0F67
	v_mul_f32_e32 v100, v100, v140                             // 000000009C10: 0AC91964
	v_mul_f32_e32 v101, v101, v141                             // 000000009C14: 0ACB1B65
	v_mul_f32_e32 v102, v102, v142                             // 000000009C18: 0ACD1D66
	v_mul_f32_e32 v103, v103, v143                             // 000000009C1C: 0ACF1F67
	v_mul_f32_e64 v4, -v104, s6                                // 000000009C20: D1050004 20000D68
	v_mul_f32_e64 v5, -v105, s6                                // 000000009C28: D1050005 20000D69
	v_mul_f32_e64 v6, -v106, s6                                // 000000009C30: D1050006 20000D6A
	v_mul_f32_e64 v7, -v107, s6                                // 000000009C38: D1050007 20000D6B
	v_exp_f32_e32 v4, v4                                       // 000000009C40: 7E084104
	v_exp_f32_e32 v5, v5                                       // 000000009C44: 7E0A4105
	v_exp_f32_e32 v6, v6                                       // 000000009C48: 7E0C4106
	v_exp_f32_e32 v7, v7                                       // 000000009C4C: 7E0E4107
	v_add_f32_e64 v4, v4, 1.0                                  // 000000009C50: D1010004 0001E504
	v_add_f32_e64 v5, v5, 1.0                                  // 000000009C58: D1010005 0001E505
	v_add_f32_e64 v6, v6, 1.0                                  // 000000009C60: D1010006 0001E506
	v_add_f32_e64 v7, v7, 1.0                                  // 000000009C68: D1010007 0001E507
	v_rcp_f32_e32 v4, v4                                       // 000000009C70: 7E084504
	v_rcp_f32_e32 v5, v5                                       // 000000009C74: 7E0A4505
	v_rcp_f32_e32 v6, v6                                       // 000000009C78: 7E0C4506
	v_rcp_f32_e32 v7, v7                                       // 000000009C7C: 7E0E4507
	v_mul_f32_e32 v104, v104, v4                               // 000000009C80: 0AD00968
	v_mul_f32_e32 v105, v105, v5                               // 000000009C84: 0AD20B69
	v_mul_f32_e32 v106, v106, v6                               // 000000009C88: 0AD40D6A
	v_mul_f32_e32 v107, v107, v7                               // 000000009C8C: 0AD60F6B
	v_mul_f32_e32 v104, v104, v144                             // 000000009C90: 0AD12168
	v_mul_f32_e32 v105, v105, v145                             // 000000009C94: 0AD32369
	v_mul_f32_e32 v106, v106, v146                             // 000000009C98: 0AD5256A
	v_mul_f32_e32 v107, v107, v147                             // 000000009C9C: 0AD7276B
	v_mul_f32_e64 v4, -v108, s6                                // 000000009CA0: D1050004 20000D6C
	v_mul_f32_e64 v5, -v109, s6                                // 000000009CA8: D1050005 20000D6D
	v_mul_f32_e64 v6, -v110, s6                                // 000000009CB0: D1050006 20000D6E
	v_mul_f32_e64 v7, -v111, s6                                // 000000009CB8: D1050007 20000D6F
	v_exp_f32_e32 v4, v4                                       // 000000009CC0: 7E084104
	v_exp_f32_e32 v5, v5                                       // 000000009CC4: 7E0A4105
	v_exp_f32_e32 v6, v6                                       // 000000009CC8: 7E0C4106
	v_exp_f32_e32 v7, v7                                       // 000000009CCC: 7E0E4107
	v_add_f32_e64 v4, v4, 1.0                                  // 000000009CD0: D1010004 0001E504
	v_add_f32_e64 v5, v5, 1.0                                  // 000000009CD8: D1010005 0001E505
	v_add_f32_e64 v6, v6, 1.0                                  // 000000009CE0: D1010006 0001E506
	v_add_f32_e64 v7, v7, 1.0                                  // 000000009CE8: D1010007 0001E507
	v_rcp_f32_e32 v4, v4                                       // 000000009CF0: 7E084504
	v_rcp_f32_e32 v5, v5                                       // 000000009CF4: 7E0A4505
	v_rcp_f32_e32 v6, v6                                       // 000000009CF8: 7E0C4506
	v_rcp_f32_e32 v7, v7                                       // 000000009CFC: 7E0E4507
	v_mul_f32_e32 v108, v108, v4                               // 000000009D00: 0AD8096C
	v_mul_f32_e32 v109, v109, v5                               // 000000009D04: 0ADA0B6D
	v_mul_f32_e32 v110, v110, v6                               // 000000009D08: 0ADC0D6E
	v_mul_f32_e32 v111, v111, v7                               // 000000009D0C: 0ADE0F6F
	v_mul_f32_e32 v108, v108, v148                             // 000000009D10: 0AD9296C
	v_mul_f32_e32 v109, v109, v149                             // 000000009D14: 0ADB2B6D
	v_mul_f32_e32 v110, v110, v150                             // 000000009D18: 0ADD2D6E
	v_mul_f32_e32 v111, v111, v151                             // 000000009D1C: 0ADF2F6F
	v_mul_f32_e64 v4, -v112, s6                                // 000000009D20: D1050004 20000D70
	v_mul_f32_e64 v5, -v113, s6                                // 000000009D28: D1050005 20000D71
	v_mul_f32_e64 v6, -v114, s6                                // 000000009D30: D1050006 20000D72
	v_mul_f32_e64 v7, -v115, s6                                // 000000009D38: D1050007 20000D73
	v_exp_f32_e32 v4, v4                                       // 000000009D40: 7E084104
	v_exp_f32_e32 v5, v5                                       // 000000009D44: 7E0A4105
	v_exp_f32_e32 v6, v6                                       // 000000009D48: 7E0C4106
	v_exp_f32_e32 v7, v7                                       // 000000009D4C: 7E0E4107
	v_add_f32_e64 v4, v4, 1.0                                  // 000000009D50: D1010004 0001E504
	v_add_f32_e64 v5, v5, 1.0                                  // 000000009D58: D1010005 0001E505
	v_add_f32_e64 v6, v6, 1.0                                  // 000000009D60: D1010006 0001E506
	v_add_f32_e64 v7, v7, 1.0                                  // 000000009D68: D1010007 0001E507
	v_rcp_f32_e32 v4, v4                                       // 000000009D70: 7E084504
	v_rcp_f32_e32 v5, v5                                       // 000000009D74: 7E0A4505
	v_rcp_f32_e32 v6, v6                                       // 000000009D78: 7E0C4506
	v_rcp_f32_e32 v7, v7                                       // 000000009D7C: 7E0E4507
	v_mul_f32_e32 v112, v112, v4                               // 000000009D80: 0AE00970
	v_mul_f32_e32 v113, v113, v5                               // 000000009D84: 0AE20B71
	v_mul_f32_e32 v114, v114, v6                               // 000000009D88: 0AE40D72
	v_mul_f32_e32 v115, v115, v7                               // 000000009D8C: 0AE60F73
	v_mul_f32_e32 v112, v112, v152                             // 000000009D90: 0AE13170
	v_mul_f32_e32 v113, v113, v153                             // 000000009D94: 0AE33371
	v_mul_f32_e32 v114, v114, v154                             // 000000009D98: 0AE53572
	v_mul_f32_e32 v115, v115, v155                             // 000000009D9C: 0AE73773
	v_mul_f32_e64 v4, -v116, s6                                // 000000009DA0: D1050004 20000D74
	v_mul_f32_e64 v5, -v117, s6                                // 000000009DA8: D1050005 20000D75
	v_mul_f32_e64 v6, -v118, s6                                // 000000009DB0: D1050006 20000D76
	v_mul_f32_e64 v7, -v119, s6                                // 000000009DB8: D1050007 20000D77
	v_exp_f32_e32 v4, v4                                       // 000000009DC0: 7E084104
	v_exp_f32_e32 v5, v5                                       // 000000009DC4: 7E0A4105
	v_exp_f32_e32 v6, v6                                       // 000000009DC8: 7E0C4106
	v_exp_f32_e32 v7, v7                                       // 000000009DCC: 7E0E4107
	v_add_f32_e64 v4, v4, 1.0                                  // 000000009DD0: D1010004 0001E504
	v_add_f32_e64 v5, v5, 1.0                                  // 000000009DD8: D1010005 0001E505
	v_add_f32_e64 v6, v6, 1.0                                  // 000000009DE0: D1010006 0001E506
	v_add_f32_e64 v7, v7, 1.0                                  // 000000009DE8: D1010007 0001E507
	v_rcp_f32_e32 v4, v4                                       // 000000009DF0: 7E084504
	v_rcp_f32_e32 v5, v5                                       // 000000009DF4: 7E0A4505
	v_rcp_f32_e32 v6, v6                                       // 000000009DF8: 7E0C4506
	v_rcp_f32_e32 v7, v7                                       // 000000009DFC: 7E0E4507
	v_mul_f32_e32 v116, v116, v4                               // 000000009E00: 0AE80974
	v_mul_f32_e32 v117, v117, v5                               // 000000009E04: 0AEA0B75
	v_mul_f32_e32 v118, v118, v6                               // 000000009E08: 0AEC0D76
	v_mul_f32_e32 v119, v119, v7                               // 000000009E0C: 0AEE0F77
	v_mul_f32_e32 v116, v116, v156                             // 000000009E10: 0AE93974
	v_mul_f32_e32 v117, v117, v157                             // 000000009E14: 0AEB3B75
	v_mul_f32_e32 v118, v118, v158                             // 000000009E18: 0AED3D76
	v_mul_f32_e32 v119, v119, v159                             // 000000009E1C: 0AEF3F77
	v_mul_f32_e64 v4, -v120, s6                                // 000000009E20: D1050004 20000D78
	v_mul_f32_e64 v5, -v121, s6                                // 000000009E28: D1050005 20000D79
	v_mul_f32_e64 v6, -v122, s6                                // 000000009E30: D1050006 20000D7A
	v_mul_f32_e64 v7, -v123, s6                                // 000000009E38: D1050007 20000D7B
	v_exp_f32_e32 v4, v4                                       // 000000009E40: 7E084104
	v_exp_f32_e32 v5, v5                                       // 000000009E44: 7E0A4105
	v_exp_f32_e32 v6, v6                                       // 000000009E48: 7E0C4106
	v_exp_f32_e32 v7, v7                                       // 000000009E4C: 7E0E4107
	v_add_f32_e64 v4, v4, 1.0                                  // 000000009E50: D1010004 0001E504
	v_add_f32_e64 v5, v5, 1.0                                  // 000000009E58: D1010005 0001E505
	v_add_f32_e64 v6, v6, 1.0                                  // 000000009E60: D1010006 0001E506
	v_add_f32_e64 v7, v7, 1.0                                  // 000000009E68: D1010007 0001E507
	v_rcp_f32_e32 v4, v4                                       // 000000009E70: 7E084504
	v_rcp_f32_e32 v5, v5                                       // 000000009E74: 7E0A4505
	v_rcp_f32_e32 v6, v6                                       // 000000009E78: 7E0C4506
	v_rcp_f32_e32 v7, v7                                       // 000000009E7C: 7E0E4507
	v_mul_f32_e32 v120, v120, v4                               // 000000009E80: 0AF00978
	v_mul_f32_e32 v121, v121, v5                               // 000000009E84: 0AF20B79
	v_mul_f32_e32 v122, v122, v6                               // 000000009E88: 0AF40D7A
	v_mul_f32_e32 v123, v123, v7                               // 000000009E8C: 0AF60F7B
	v_mul_f32_e32 v120, v120, v160                             // 000000009E90: 0AF14178
	v_mul_f32_e32 v121, v121, v161                             // 000000009E94: 0AF34379
	v_mul_f32_e32 v122, v122, v162                             // 000000009E98: 0AF5457A
	v_mul_f32_e32 v123, v123, v163                             // 000000009E9C: 0AF7477B
	v_mul_f32_e64 v4, -v124, s6                                // 000000009EA0: D1050004 20000D7C
	v_mul_f32_e64 v5, -v125, s6                                // 000000009EA8: D1050005 20000D7D
	v_mul_f32_e64 v6, -v126, s6                                // 000000009EB0: D1050006 20000D7E
	v_mul_f32_e64 v7, -v127, s6                                // 000000009EB8: D1050007 20000D7F
	v_exp_f32_e32 v4, v4                                       // 000000009EC0: 7E084104
	v_exp_f32_e32 v5, v5                                       // 000000009EC4: 7E0A4105
	v_exp_f32_e32 v6, v6                                       // 000000009EC8: 7E0C4106
	v_exp_f32_e32 v7, v7                                       // 000000009ECC: 7E0E4107
	v_add_f32_e64 v4, v4, 1.0                                  // 000000009ED0: D1010004 0001E504
	v_add_f32_e64 v5, v5, 1.0                                  // 000000009ED8: D1010005 0001E505
	v_add_f32_e64 v6, v6, 1.0                                  // 000000009EE0: D1010006 0001E506
	v_add_f32_e64 v7, v7, 1.0                                  // 000000009EE8: D1010007 0001E507
	v_rcp_f32_e32 v4, v4                                       // 000000009EF0: 7E084504
	v_rcp_f32_e32 v5, v5                                       // 000000009EF4: 7E0A4505
	v_rcp_f32_e32 v6, v6                                       // 000000009EF8: 7E0C4506
	v_rcp_f32_e32 v7, v7                                       // 000000009EFC: 7E0E4507
	v_mul_f32_e32 v124, v124, v4                               // 000000009F00: 0AF8097C
	v_mul_f32_e32 v125, v125, v5                               // 000000009F04: 0AFA0B7D
	v_mul_f32_e32 v126, v126, v6                               // 000000009F08: 0AFC0D7E
	v_mul_f32_e32 v127, v127, v7                               // 000000009F0C: 0AFE0F7F
	v_mul_f32_e32 v124, v124, v164                             // 000000009F10: 0AF9497C
	v_mul_f32_e32 v125, v125, v165                             // 000000009F14: 0AFB4B7D
	v_mul_f32_e32 v126, v126, v166                             // 000000009F18: 0AFD4D7E
	v_mul_f32_e32 v127, v127, v167                             // 000000009F1C: 0AFF4F7F
	v_mul_f32_e64 v4, -v128, s6                                // 000000009F20: D1050004 20000D80
	v_mul_f32_e64 v5, -v129, s6                                // 000000009F28: D1050005 20000D81
	v_mul_f32_e64 v6, -v130, s6                                // 000000009F30: D1050006 20000D82
	v_mul_f32_e64 v7, -v131, s6                                // 000000009F38: D1050007 20000D83
	v_exp_f32_e32 v4, v4                                       // 000000009F40: 7E084104
	v_exp_f32_e32 v5, v5                                       // 000000009F44: 7E0A4105
	v_exp_f32_e32 v6, v6                                       // 000000009F48: 7E0C4106
	v_exp_f32_e32 v7, v7                                       // 000000009F4C: 7E0E4107
	v_add_f32_e64 v4, v4, 1.0                                  // 000000009F50: D1010004 0001E504
	v_add_f32_e64 v5, v5, 1.0                                  // 000000009F58: D1010005 0001E505
	v_add_f32_e64 v6, v6, 1.0                                  // 000000009F60: D1010006 0001E506
	v_add_f32_e64 v7, v7, 1.0                                  // 000000009F68: D1010007 0001E507
	v_rcp_f32_e32 v4, v4                                       // 000000009F70: 7E084504
	v_rcp_f32_e32 v5, v5                                       // 000000009F74: 7E0A4505
	v_rcp_f32_e32 v6, v6                                       // 000000009F78: 7E0C4506
	v_rcp_f32_e32 v7, v7                                       // 000000009F7C: 7E0E4507
	v_mul_f32_e32 v128, v128, v4                               // 000000009F80: 0B000980
	v_mul_f32_e32 v129, v129, v5                               // 000000009F84: 0B020B81
	v_mul_f32_e32 v130, v130, v6                               // 000000009F88: 0B040D82
	v_mul_f32_e32 v131, v131, v7                               // 000000009F8C: 0B060F83
	v_mul_f32_e32 v128, v128, v168                             // 000000009F90: 0B015180
	v_mul_f32_e32 v129, v129, v169                             // 000000009F94: 0B035381
	v_mul_f32_e32 v130, v130, v170                             // 000000009F98: 0B055582
	v_mul_f32_e32 v131, v131, v171                             // 000000009F9C: 0B075783

0000000000009fa0 <label_1D6B>:
	v_cmp_u_f32_e64 s[46:47], v92, v92                         // 000000009FA0: D048002E 0002B95C
	v_add3_u32 v16, v92, v19, 1                                // 000000009FA8: D1FF0010 0206275C
	v_cndmask_b32_e64 v4, v16, v18, s[46:47]                   // 000000009FB0: D1000004 00BA2510
	v_cmp_u_f32_e64 s[46:47], v93, v93                         // 000000009FB8: D048002E 0002BB5D
	v_add3_u32 v16, v93, v19, 1                                // 000000009FC0: D1FF0010 0206275D
	v_cndmask_b32_e64 v5, v16, v18, s[46:47]                   // 000000009FC8: D1000005 00BA2510
	v_perm_b32 v92, v5, v4, s52                                // 000000009FD0: D1ED005C 00D20905
	v_cmp_u_f32_e64 s[46:47], v94, v94                         // 000000009FD8: D048002E 0002BD5E
	v_add3_u32 v16, v94, v19, 1                                // 000000009FE0: D1FF0010 0206275E
	v_cndmask_b32_e64 v4, v16, v18, s[46:47]                   // 000000009FE8: D1000004 00BA2510
	v_cmp_u_f32_e64 s[46:47], v95, v95                         // 000000009FF0: D048002E 0002BF5F
	v_add3_u32 v16, v95, v19, 1                                // 000000009FF8: D1FF0010 0206275F
	v_cndmask_b32_e64 v5, v16, v18, s[46:47]                   // 00000000A000: D1000005 00BA2510
	v_perm_b32 v93, v5, v4, s52                                // 00000000A008: D1ED005D 00D20905
	v_cmp_u_f32_e64 s[46:47], v96, v96                         // 00000000A010: D048002E 0002C160
	v_add3_u32 v16, v96, v19, 1                                // 00000000A018: D1FF0010 02062760
	v_cndmask_b32_e64 v4, v16, v18, s[46:47]                   // 00000000A020: D1000004 00BA2510
	v_cmp_u_f32_e64 s[46:47], v97, v97                         // 00000000A028: D048002E 0002C361
	v_add3_u32 v16, v97, v19, 1                                // 00000000A030: D1FF0010 02062761
	v_cndmask_b32_e64 v5, v16, v18, s[46:47]                   // 00000000A038: D1000005 00BA2510
	v_perm_b32 v94, v5, v4, s52                                // 00000000A040: D1ED005E 00D20905
	v_cmp_u_f32_e64 s[46:47], v98, v98                         // 00000000A048: D048002E 0002C562
	v_add3_u32 v16, v98, v19, 1                                // 00000000A050: D1FF0010 02062762
	v_cndmask_b32_e64 v4, v16, v18, s[46:47]                   // 00000000A058: D1000004 00BA2510
	v_cmp_u_f32_e64 s[46:47], v99, v99                         // 00000000A060: D048002E 0002C763
	v_add3_u32 v16, v99, v19, 1                                // 00000000A068: D1FF0010 02062763
	v_cndmask_b32_e64 v5, v16, v18, s[46:47]                   // 00000000A070: D1000005 00BA2510
	v_perm_b32 v95, v5, v4, s52                                // 00000000A078: D1ED005F 00D20905
	v_cmp_u_f32_e64 s[46:47], v100, v100                       // 00000000A080: D048002E 0002C964
	v_add3_u32 v16, v100, v19, 1                               // 00000000A088: D1FF0010 02062764
	v_cndmask_b32_e64 v4, v16, v18, s[46:47]                   // 00000000A090: D1000004 00BA2510
	v_cmp_u_f32_e64 s[46:47], v101, v101                       // 00000000A098: D048002E 0002CB65
	v_add3_u32 v16, v101, v19, 1                               // 00000000A0A0: D1FF0010 02062765
	v_cndmask_b32_e64 v5, v16, v18, s[46:47]                   // 00000000A0A8: D1000005 00BA2510
	v_perm_b32 v96, v5, v4, s52                                // 00000000A0B0: D1ED0060 00D20905
	v_cmp_u_f32_e64 s[46:47], v102, v102                       // 00000000A0B8: D048002E 0002CD66
	v_add3_u32 v16, v102, v19, 1                               // 00000000A0C0: D1FF0010 02062766
	v_cndmask_b32_e64 v4, v16, v18, s[46:47]                   // 00000000A0C8: D1000004 00BA2510
	v_cmp_u_f32_e64 s[46:47], v103, v103                       // 00000000A0D0: D048002E 0002CF67
	v_add3_u32 v16, v103, v19, 1                               // 00000000A0D8: D1FF0010 02062767
	v_cndmask_b32_e64 v5, v16, v18, s[46:47]                   // 00000000A0E0: D1000005 00BA2510
	v_perm_b32 v97, v5, v4, s52                                // 00000000A0E8: D1ED0061 00D20905
	v_cmp_u_f32_e64 s[46:47], v104, v104                       // 00000000A0F0: D048002E 0002D168
	v_add3_u32 v16, v104, v19, 1                               // 00000000A0F8: D1FF0010 02062768
	v_cndmask_b32_e64 v4, v16, v18, s[46:47]                   // 00000000A100: D1000004 00BA2510
	v_cmp_u_f32_e64 s[46:47], v105, v105                       // 00000000A108: D048002E 0002D369
	v_add3_u32 v16, v105, v19, 1                               // 00000000A110: D1FF0010 02062769
	v_cndmask_b32_e64 v5, v16, v18, s[46:47]                   // 00000000A118: D1000005 00BA2510
	v_perm_b32 v98, v5, v4, s52                                // 00000000A120: D1ED0062 00D20905
	v_cmp_u_f32_e64 s[46:47], v106, v106                       // 00000000A128: D048002E 0002D56A
	v_add3_u32 v16, v106, v19, 1                               // 00000000A130: D1FF0010 0206276A
	v_cndmask_b32_e64 v4, v16, v18, s[46:47]                   // 00000000A138: D1000004 00BA2510
	v_cmp_u_f32_e64 s[46:47], v107, v107                       // 00000000A140: D048002E 0002D76B
	v_add3_u32 v16, v107, v19, 1                               // 00000000A148: D1FF0010 0206276B
	v_cndmask_b32_e64 v5, v16, v18, s[46:47]                   // 00000000A150: D1000005 00BA2510
	v_perm_b32 v99, v5, v4, s52                                // 00000000A158: D1ED0063 00D20905
	v_cmp_u_f32_e64 s[46:47], v108, v108                       // 00000000A160: D048002E 0002D96C
	v_add3_u32 v16, v108, v19, 1                               // 00000000A168: D1FF0010 0206276C
	v_cndmask_b32_e64 v4, v16, v18, s[46:47]                   // 00000000A170: D1000004 00BA2510
	v_cmp_u_f32_e64 s[46:47], v109, v109                       // 00000000A178: D048002E 0002DB6D
	v_add3_u32 v16, v109, v19, 1                               // 00000000A180: D1FF0010 0206276D
	v_cndmask_b32_e64 v5, v16, v18, s[46:47]                   // 00000000A188: D1000005 00BA2510
	v_perm_b32 v100, v5, v4, s52                               // 00000000A190: D1ED0064 00D20905
	v_cmp_u_f32_e64 s[46:47], v110, v110                       // 00000000A198: D048002E 0002DD6E
	v_add3_u32 v16, v110, v19, 1                               // 00000000A1A0: D1FF0010 0206276E
	v_cndmask_b32_e64 v4, v16, v18, s[46:47]                   // 00000000A1A8: D1000004 00BA2510
	v_cmp_u_f32_e64 s[46:47], v111, v111                       // 00000000A1B0: D048002E 0002DF6F
	v_add3_u32 v16, v111, v19, 1                               // 00000000A1B8: D1FF0010 0206276F
	v_cndmask_b32_e64 v5, v16, v18, s[46:47]                   // 00000000A1C0: D1000005 00BA2510
	v_perm_b32 v101, v5, v4, s52                               // 00000000A1C8: D1ED0065 00D20905
	v_cmp_u_f32_e64 s[46:47], v112, v112                       // 00000000A1D0: D048002E 0002E170
	v_add3_u32 v16, v112, v19, 1                               // 00000000A1D8: D1FF0010 02062770
	v_cndmask_b32_e64 v4, v16, v18, s[46:47]                   // 00000000A1E0: D1000004 00BA2510
	v_cmp_u_f32_e64 s[46:47], v113, v113                       // 00000000A1E8: D048002E 0002E371
	v_add3_u32 v16, v113, v19, 1                               // 00000000A1F0: D1FF0010 02062771
	v_cndmask_b32_e64 v5, v16, v18, s[46:47]                   // 00000000A1F8: D1000005 00BA2510
	v_perm_b32 v102, v5, v4, s52                               // 00000000A200: D1ED0066 00D20905
	v_cmp_u_f32_e64 s[46:47], v114, v114                       // 00000000A208: D048002E 0002E572
	v_add3_u32 v16, v114, v19, 1                               // 00000000A210: D1FF0010 02062772
	v_cndmask_b32_e64 v4, v16, v18, s[46:47]                   // 00000000A218: D1000004 00BA2510
	v_cmp_u_f32_e64 s[46:47], v115, v115                       // 00000000A220: D048002E 0002E773
	v_add3_u32 v16, v115, v19, 1                               // 00000000A228: D1FF0010 02062773
	v_cndmask_b32_e64 v5, v16, v18, s[46:47]                   // 00000000A230: D1000005 00BA2510
	v_perm_b32 v103, v5, v4, s52                               // 00000000A238: D1ED0067 00D20905
	v_cmp_u_f32_e64 s[46:47], v116, v116                       // 00000000A240: D048002E 0002E974
	v_add3_u32 v16, v116, v19, 1                               // 00000000A248: D1FF0010 02062774
	v_cndmask_b32_e64 v4, v16, v18, s[46:47]                   // 00000000A250: D1000004 00BA2510
	v_cmp_u_f32_e64 s[46:47], v117, v117                       // 00000000A258: D048002E 0002EB75
	v_add3_u32 v16, v117, v19, 1                               // 00000000A260: D1FF0010 02062775
	v_cndmask_b32_e64 v5, v16, v18, s[46:47]                   // 00000000A268: D1000005 00BA2510
	v_perm_b32 v104, v5, v4, s52                               // 00000000A270: D1ED0068 00D20905
	v_cmp_u_f32_e64 s[46:47], v118, v118                       // 00000000A278: D048002E 0002ED76
	v_add3_u32 v16, v118, v19, 1                               // 00000000A280: D1FF0010 02062776
	v_cndmask_b32_e64 v4, v16, v18, s[46:47]                   // 00000000A288: D1000004 00BA2510
	v_cmp_u_f32_e64 s[46:47], v119, v119                       // 00000000A290: D048002E 0002EF77
	v_add3_u32 v16, v119, v19, 1                               // 00000000A298: D1FF0010 02062777
	v_cndmask_b32_e64 v5, v16, v18, s[46:47]                   // 00000000A2A0: D1000005 00BA2510
	v_perm_b32 v105, v5, v4, s52                               // 00000000A2A8: D1ED0069 00D20905
	v_cmp_u_f32_e64 s[46:47], v120, v120                       // 00000000A2B0: D048002E 0002F178
	v_add3_u32 v16, v120, v19, 1                               // 00000000A2B8: D1FF0010 02062778
	v_cndmask_b32_e64 v4, v16, v18, s[46:47]                   // 00000000A2C0: D1000004 00BA2510
	v_cmp_u_f32_e64 s[46:47], v121, v121                       // 00000000A2C8: D048002E 0002F379
	v_add3_u32 v16, v121, v19, 1                               // 00000000A2D0: D1FF0010 02062779
	v_cndmask_b32_e64 v5, v16, v18, s[46:47]                   // 00000000A2D8: D1000005 00BA2510
	v_perm_b32 v106, v5, v4, s52                               // 00000000A2E0: D1ED006A 00D20905
	v_cmp_u_f32_e64 s[46:47], v122, v122                       // 00000000A2E8: D048002E 0002F57A
	v_add3_u32 v16, v122, v19, 1                               // 00000000A2F0: D1FF0010 0206277A
	v_cndmask_b32_e64 v4, v16, v18, s[46:47]                   // 00000000A2F8: D1000004 00BA2510
	v_cmp_u_f32_e64 s[46:47], v123, v123                       // 00000000A300: D048002E 0002F77B
	v_add3_u32 v16, v123, v19, 1                               // 00000000A308: D1FF0010 0206277B
	v_cndmask_b32_e64 v5, v16, v18, s[46:47]                   // 00000000A310: D1000005 00BA2510
	v_perm_b32 v107, v5, v4, s52                               // 00000000A318: D1ED006B 00D20905
	v_cmp_u_f32_e64 s[46:47], v124, v124                       // 00000000A320: D048002E 0002F97C
	v_add3_u32 v16, v124, v19, 1                               // 00000000A328: D1FF0010 0206277C
	v_cndmask_b32_e64 v4, v16, v18, s[46:47]                   // 00000000A330: D1000004 00BA2510
	v_cmp_u_f32_e64 s[46:47], v125, v125                       // 00000000A338: D048002E 0002FB7D
	v_add3_u32 v16, v125, v19, 1                               // 00000000A340: D1FF0010 0206277D
	v_cndmask_b32_e64 v5, v16, v18, s[46:47]                   // 00000000A348: D1000005 00BA2510
	v_perm_b32 v108, v5, v4, s52                               // 00000000A350: D1ED006C 00D20905
	v_cmp_u_f32_e64 s[46:47], v126, v126                       // 00000000A358: D048002E 0002FD7E
	v_add3_u32 v16, v126, v19, 1                               // 00000000A360: D1FF0010 0206277E
	v_cndmask_b32_e64 v4, v16, v18, s[46:47]                   // 00000000A368: D1000004 00BA2510
	v_cmp_u_f32_e64 s[46:47], v127, v127                       // 00000000A370: D048002E 0002FF7F
	v_add3_u32 v16, v127, v19, 1                               // 00000000A378: D1FF0010 0206277F
	v_cndmask_b32_e64 v5, v16, v18, s[46:47]                   // 00000000A380: D1000005 00BA2510
	v_perm_b32 v109, v5, v4, s52                               // 00000000A388: D1ED006D 00D20905
	v_cmp_u_f32_e64 s[46:47], v128, v128                       // 00000000A390: D048002E 00030180
	v_add3_u32 v16, v128, v19, 1                               // 00000000A398: D1FF0010 02062780
	v_cndmask_b32_e64 v4, v16, v18, s[46:47]                   // 00000000A3A0: D1000004 00BA2510
	v_cmp_u_f32_e64 s[46:47], v129, v129                       // 00000000A3A8: D048002E 00030381
	v_add3_u32 v16, v129, v19, 1                               // 00000000A3B0: D1FF0010 02062781
	v_cndmask_b32_e64 v5, v16, v18, s[46:47]                   // 00000000A3B8: D1000005 00BA2510
	v_perm_b32 v110, v5, v4, s52                               // 00000000A3C0: D1ED006E 00D20905
	v_cmp_u_f32_e64 s[46:47], v130, v130                       // 00000000A3C8: D048002E 00030582
	v_add3_u32 v16, v130, v19, 1                               // 00000000A3D0: D1FF0010 02062782
	v_cndmask_b32_e64 v4, v16, v18, s[46:47]                   // 00000000A3D8: D1000004 00BA2510
	v_cmp_u_f32_e64 s[46:47], v131, v131                       // 00000000A3E0: D048002E 00030783
	v_add3_u32 v16, v131, v19, 1                               // 00000000A3E8: D1FF0010 02062783
	v_cndmask_b32_e64 v5, v16, v18, s[46:47]                   // 00000000A3F0: D1000005 00BA2510
	v_perm_b32 v111, v5, v4, s52                               // 00000000A3F8: D1ED006F 00D20905
	ds_write_b64 v20, v[92:93]                                 // 00000000A400: D89A0000 00005C14
	ds_write_b64 v20, v[94:95] offset:2176                     // 00000000A408: D89A0880 00005E14
	ds_write_b64 v20, v[96:97] offset:4352                     // 00000000A410: D89A1100 00006014
	ds_write_b64 v20, v[98:99] offset:6528                     // 00000000A418: D89A1980 00006214
	ds_write_b64 v20, v[100:101] offset:8704                   // 00000000A420: D89A2200 00006414
	ds_write_b64 v20, v[102:103] offset:10880                  // 00000000A428: D89A2A80 00006614
	ds_write_b64 v20, v[104:105] offset:13056                  // 00000000A430: D89A3300 00006814
	ds_write_b64 v20, v[106:107] offset:15232                  // 00000000A438: D89A3B80 00006A14
	ds_write_b64 v20, v[108:109] offset:17408                  // 00000000A440: D89A4400 00006C14
	ds_write_b64 v20, v[110:111] offset:19584                  // 00000000A448: D89A4C80 00006E14
	v_lshrrev_b32_e32 v4, 5, v0                                // 00000000A450: 20080085
	v_xor_b32_e32 v5, 1, v4                                    // 00000000A454: 2A0A0881
	s_mul_i32 s60, s65, 2                                      // 00000000A458: 923C8241
	s_cmp_eq_u32 s88, 0                                        // 00000000A45C: BF068058
	s_cselect_b32 s61, 1, 4                                    // 00000000A460: 853D8481
	s_mul_i32 s60, s61, s60                                    // 00000000A464: 923C3C3D
	v_readlane_b32 s82, v3, 0                                  // 00000000A468: D2890052 00010103
	s_lshr_b32 s61, s82, 24                                    // 00000000A470: 8F3D9852
	s_and_b32 s82, s82, 0xffffff                               // 00000000A474: 8652FF52 00FFFFFF
	s_mul_i32 s82, s82, s71                                    // 00000000A47C: 92524752
	s_mul_i32 s61, s60, s61                                    // 00000000A480: 923D3D3C
	s_add_u32 s82, s82, s61                                    // 00000000A484: 80523D52
	v_mul_lo_u32 v6, v5, s82                                   // 00000000A488: D2850006 0000A505
	v_readlane_b32 s82, v3, 1                                  // 00000000A490: D2890052 00010303
	s_lshr_b32 s61, s82, 24                                    // 00000000A498: 8F3D9852
	s_and_b32 s82, s82, 0xffffff                               // 00000000A49C: 8652FF52 00FFFFFF
	s_mul_i32 s82, s82, s71                                    // 00000000A4A4: 92524752
	s_mul_i32 s61, s60, s61                                    // 00000000A4A8: 923D3D3C
	s_add_u32 s82, s82, s61                                    // 00000000A4AC: 80523D52
	v_mul_lo_u32 v7, v4, s82                                   // 00000000A4B0: D2850007 0000A504
	v_add_u32_e32 v68, v6, v7                                  // 00000000A4B8: 68880F06
	v_readlane_b32 s82, v3, 2                                  // 00000000A4BC: D2890052 00010503
	s_lshr_b32 s61, s82, 24                                    // 00000000A4C4: 8F3D9852
	s_and_b32 s82, s82, 0xffffff                               // 00000000A4C8: 8652FF52 00FFFFFF
	s_mul_i32 s82, s82, s71                                    // 00000000A4D0: 92524752
	s_mul_i32 s61, s60, s61                                    // 00000000A4D4: 923D3D3C
	s_add_u32 s82, s82, s61                                    // 00000000A4D8: 80523D52
	v_mul_lo_u32 v6, v5, s82                                   // 00000000A4DC: D2850006 0000A505
	v_readlane_b32 s82, v3, 3                                  // 00000000A4E4: D2890052 00010703
	s_lshr_b32 s61, s82, 24                                    // 00000000A4EC: 8F3D9852
	s_and_b32 s82, s82, 0xffffff                               // 00000000A4F0: 8652FF52 00FFFFFF
	s_mul_i32 s82, s82, s71                                    // 00000000A4F8: 92524752
	s_mul_i32 s61, s60, s61                                    // 00000000A4FC: 923D3D3C
	s_add_u32 s82, s82, s61                                    // 00000000A500: 80523D52
	v_mul_lo_u32 v7, v4, s82                                   // 00000000A504: D2850007 0000A504
	v_add_u32_e32 v69, v6, v7                                  // 00000000A50C: 688A0F06
	v_readlane_b32 s82, v3, 4                                  // 00000000A510: D2890052 00010903
	s_lshr_b32 s61, s82, 24                                    // 00000000A518: 8F3D9852
	s_and_b32 s82, s82, 0xffffff                               // 00000000A51C: 8652FF52 00FFFFFF
	s_mul_i32 s82, s82, s71                                    // 00000000A524: 92524752
	s_mul_i32 s61, s60, s61                                    // 00000000A528: 923D3D3C
	s_add_u32 s82, s82, s61                                    // 00000000A52C: 80523D52
	v_mul_lo_u32 v6, v5, s82                                   // 00000000A530: D2850006 0000A505
	v_readlane_b32 s82, v3, 5                                  // 00000000A538: D2890052 00010B03
	s_lshr_b32 s61, s82, 24                                    // 00000000A540: 8F3D9852
	s_and_b32 s82, s82, 0xffffff                               // 00000000A544: 8652FF52 00FFFFFF
	s_mul_i32 s82, s82, s71                                    // 00000000A54C: 92524752
	s_mul_i32 s61, s60, s61                                    // 00000000A550: 923D3D3C
	s_add_u32 s82, s82, s61                                    // 00000000A554: 80523D52
	v_mul_lo_u32 v7, v4, s82                                   // 00000000A558: D2850007 0000A504
	v_add_u32_e32 v70, v6, v7                                  // 00000000A560: 688C0F06
	v_readlane_b32 s82, v3, 6                                  // 00000000A564: D2890052 00010D03
	s_lshr_b32 s61, s82, 24                                    // 00000000A56C: 8F3D9852
	s_and_b32 s82, s82, 0xffffff                               // 00000000A570: 8652FF52 00FFFFFF
	s_mul_i32 s82, s82, s71                                    // 00000000A578: 92524752
	s_mul_i32 s61, s60, s61                                    // 00000000A57C: 923D3D3C
	s_add_u32 s82, s82, s61                                    // 00000000A580: 80523D52
	v_mul_lo_u32 v6, v5, s82                                   // 00000000A584: D2850006 0000A505
	v_readlane_b32 s82, v3, 7                                  // 00000000A58C: D2890052 00010F03
	s_lshr_b32 s61, s82, 24                                    // 00000000A594: 8F3D9852
	s_and_b32 s82, s82, 0xffffff                               // 00000000A598: 8652FF52 00FFFFFF
	s_mul_i32 s82, s82, s71                                    // 00000000A5A0: 92524752
	s_mul_i32 s61, s60, s61                                    // 00000000A5A4: 923D3D3C
	s_add_u32 s82, s82, s61                                    // 00000000A5A8: 80523D52
	v_mul_lo_u32 v7, v4, s82                                   // 00000000A5AC: D2850007 0000A504
	v_add_u32_e32 v71, v6, v7                                  // 00000000A5B4: 688E0F06
	v_readlane_b32 s82, v3, 8                                  // 00000000A5B8: D2890052 00011103
	s_lshr_b32 s61, s82, 24                                    // 00000000A5C0: 8F3D9852
	s_and_b32 s82, s82, 0xffffff                               // 00000000A5C4: 8652FF52 00FFFFFF
	s_mul_i32 s82, s82, s71                                    // 00000000A5CC: 92524752
	s_mul_i32 s61, s60, s61                                    // 00000000A5D0: 923D3D3C
	s_add_u32 s82, s82, s61                                    // 00000000A5D4: 80523D52
	v_mul_lo_u32 v6, v5, s82                                   // 00000000A5D8: D2850006 0000A505
	v_readlane_b32 s82, v3, 9                                  // 00000000A5E0: D2890052 00011303
	s_lshr_b32 s61, s82, 24                                    // 00000000A5E8: 8F3D9852
	s_and_b32 s82, s82, 0xffffff                               // 00000000A5EC: 8652FF52 00FFFFFF
	s_mul_i32 s82, s82, s71                                    // 00000000A5F4: 92524752
	s_mul_i32 s61, s60, s61                                    // 00000000A5F8: 923D3D3C
	s_add_u32 s82, s82, s61                                    // 00000000A5FC: 80523D52
	v_mul_lo_u32 v7, v4, s82                                   // 00000000A600: D2850007 0000A504
	v_add_u32_e32 v72, v6, v7                                  // 00000000A608: 68900F06
	v_readlane_b32 s82, v3, 10                                 // 00000000A60C: D2890052 00011503
	s_lshr_b32 s61, s82, 24                                    // 00000000A614: 8F3D9852
	s_and_b32 s82, s82, 0xffffff                               // 00000000A618: 8652FF52 00FFFFFF
	s_mul_i32 s82, s82, s71                                    // 00000000A620: 92524752
	s_mul_i32 s61, s60, s61                                    // 00000000A624: 923D3D3C
	s_add_u32 s82, s82, s61                                    // 00000000A628: 80523D52
	v_mul_lo_u32 v6, v5, s82                                   // 00000000A62C: D2850006 0000A505
	v_readlane_b32 s82, v3, 11                                 // 00000000A634: D2890052 00011703
	s_lshr_b32 s61, s82, 24                                    // 00000000A63C: 8F3D9852
	s_and_b32 s82, s82, 0xffffff                               // 00000000A640: 8652FF52 00FFFFFF
	s_mul_i32 s82, s82, s71                                    // 00000000A648: 92524752
	s_mul_i32 s61, s60, s61                                    // 00000000A64C: 923D3D3C
	s_add_u32 s82, s82, s61                                    // 00000000A650: 80523D52
	v_mul_lo_u32 v7, v4, s82                                   // 00000000A654: D2850007 0000A504
	v_add_u32_e32 v73, v6, v7                                  // 00000000A65C: 68920F06
	v_readlane_b32 s82, v3, 12                                 // 00000000A660: D2890052 00011903
	s_lshr_b32 s61, s82, 24                                    // 00000000A668: 8F3D9852
	s_and_b32 s82, s82, 0xffffff                               // 00000000A66C: 8652FF52 00FFFFFF
	s_mul_i32 s82, s82, s71                                    // 00000000A674: 92524752
	s_mul_i32 s61, s60, s61                                    // 00000000A678: 923D3D3C
	s_add_u32 s82, s82, s61                                    // 00000000A67C: 80523D52
	v_mul_lo_u32 v6, v5, s82                                   // 00000000A680: D2850006 0000A505
	v_readlane_b32 s82, v3, 13                                 // 00000000A688: D2890052 00011B03
	s_lshr_b32 s61, s82, 24                                    // 00000000A690: 8F3D9852
	s_and_b32 s82, s82, 0xffffff                               // 00000000A694: 8652FF52 00FFFFFF
	s_mul_i32 s82, s82, s71                                    // 00000000A69C: 92524752
	s_mul_i32 s61, s60, s61                                    // 00000000A6A0: 923D3D3C
	s_add_u32 s82, s82, s61                                    // 00000000A6A4: 80523D52
	v_mul_lo_u32 v7, v4, s82                                   // 00000000A6A8: D2850007 0000A504
	v_add_u32_e32 v74, v6, v7                                  // 00000000A6B0: 68940F06
	v_readlane_b32 s82, v3, 14                                 // 00000000A6B4: D2890052 00011D03
	s_lshr_b32 s61, s82, 24                                    // 00000000A6BC: 8F3D9852
	s_and_b32 s82, s82, 0xffffff                               // 00000000A6C0: 8652FF52 00FFFFFF
	s_mul_i32 s82, s82, s71                                    // 00000000A6C8: 92524752
	s_mul_i32 s61, s60, s61                                    // 00000000A6CC: 923D3D3C
	s_add_u32 s82, s82, s61                                    // 00000000A6D0: 80523D52
	v_mul_lo_u32 v6, v5, s82                                   // 00000000A6D4: D2850006 0000A505
	v_readlane_b32 s82, v3, 15                                 // 00000000A6DC: D2890052 00011F03
	s_lshr_b32 s61, s82, 24                                    // 00000000A6E4: 8F3D9852
	s_and_b32 s82, s82, 0xffffff                               // 00000000A6E8: 8652FF52 00FFFFFF
	s_mul_i32 s82, s82, s71                                    // 00000000A6F0: 92524752
	s_mul_i32 s61, s60, s61                                    // 00000000A6F4: 923D3D3C
	s_add_u32 s82, s82, s61                                    // 00000000A6F8: 80523D52
	v_mul_lo_u32 v7, v4, s82                                   // 00000000A6FC: D2850007 0000A504
	v_add_u32_e32 v75, v6, v7                                  // 00000000A704: 68960F06
	v_readlane_b32 s82, v3, 16                                 // 00000000A708: D2890052 00012103
	s_lshr_b32 s61, s82, 24                                    // 00000000A710: 8F3D9852
	s_and_b32 s82, s82, 0xffffff                               // 00000000A714: 8652FF52 00FFFFFF
	s_mul_i32 s82, s82, s71                                    // 00000000A71C: 92524752
	s_mul_i32 s61, s60, s61                                    // 00000000A720: 923D3D3C
	s_add_u32 s82, s82, s61                                    // 00000000A724: 80523D52
	v_mul_lo_u32 v6, v5, s82                                   // 00000000A728: D2850006 0000A505
	v_readlane_b32 s82, v3, 17                                 // 00000000A730: D2890052 00012303
	s_lshr_b32 s61, s82, 24                                    // 00000000A738: 8F3D9852
	s_and_b32 s82, s82, 0xffffff                               // 00000000A73C: 8652FF52 00FFFFFF
	s_mul_i32 s82, s82, s71                                    // 00000000A744: 92524752
	s_mul_i32 s61, s60, s61                                    // 00000000A748: 923D3D3C
	s_add_u32 s82, s82, s61                                    // 00000000A74C: 80523D52
	v_mul_lo_u32 v7, v4, s82                                   // 00000000A750: D2850007 0000A504
	v_add_u32_e32 v76, v6, v7                                  // 00000000A758: 68980F06
	v_readlane_b32 s82, v3, 18                                 // 00000000A75C: D2890052 00012503
	s_lshr_b32 s61, s82, 24                                    // 00000000A764: 8F3D9852
	s_and_b32 s82, s82, 0xffffff                               // 00000000A768: 8652FF52 00FFFFFF
	s_mul_i32 s82, s82, s71                                    // 00000000A770: 92524752
	s_mul_i32 s61, s60, s61                                    // 00000000A774: 923D3D3C
	s_add_u32 s82, s82, s61                                    // 00000000A778: 80523D52
	v_mul_lo_u32 v6, v5, s82                                   // 00000000A77C: D2850006 0000A505
	v_readlane_b32 s82, v3, 19                                 // 00000000A784: D2890052 00012703
	s_lshr_b32 s61, s82, 24                                    // 00000000A78C: 8F3D9852
	s_and_b32 s82, s82, 0xffffff                               // 00000000A790: 8652FF52 00FFFFFF
	s_mul_i32 s82, s82, s71                                    // 00000000A798: 92524752
	s_mul_i32 s61, s60, s61                                    // 00000000A79C: 923D3D3C
	s_add_u32 s82, s82, s61                                    // 00000000A7A0: 80523D52
	v_mul_lo_u32 v7, v4, s82                                   // 00000000A7A4: D2850007 0000A504
	v_add_u32_e32 v77, v6, v7                                  // 00000000A7AC: 689A0F06
	v_readlane_b32 s82, v3, 20                                 // 00000000A7B0: D2890052 00012903
	s_lshr_b32 s61, s82, 24                                    // 00000000A7B8: 8F3D9852
	s_and_b32 s82, s82, 0xffffff                               // 00000000A7BC: 8652FF52 00FFFFFF
	s_mul_i32 s82, s82, s71                                    // 00000000A7C4: 92524752
	s_mul_i32 s61, s60, s61                                    // 00000000A7C8: 923D3D3C
	s_add_u32 s82, s82, s61                                    // 00000000A7CC: 80523D52
	v_mul_lo_u32 v6, v5, s82                                   // 00000000A7D0: D2850006 0000A505
	v_readlane_b32 s82, v3, 21                                 // 00000000A7D8: D2890052 00012B03
	s_lshr_b32 s61, s82, 24                                    // 00000000A7E0: 8F3D9852
	s_and_b32 s82, s82, 0xffffff                               // 00000000A7E4: 8652FF52 00FFFFFF
	s_mul_i32 s82, s82, s71                                    // 00000000A7EC: 92524752
	s_mul_i32 s61, s60, s61                                    // 00000000A7F0: 923D3D3C
	s_add_u32 s82, s82, s61                                    // 00000000A7F4: 80523D52
	v_mul_lo_u32 v7, v4, s82                                   // 00000000A7F8: D2850007 0000A504
	v_add_u32_e32 v78, v6, v7                                  // 00000000A800: 689C0F06
	v_readlane_b32 s82, v3, 22                                 // 00000000A804: D2890052 00012D03
	s_lshr_b32 s61, s82, 24                                    // 00000000A80C: 8F3D9852
	s_and_b32 s82, s82, 0xffffff                               // 00000000A810: 8652FF52 00FFFFFF
	s_mul_i32 s82, s82, s71                                    // 00000000A818: 92524752
	s_mul_i32 s61, s60, s61                                    // 00000000A81C: 923D3D3C
	s_add_u32 s82, s82, s61                                    // 00000000A820: 80523D52
	v_mul_lo_u32 v6, v5, s82                                   // 00000000A824: D2850006 0000A505
	v_readlane_b32 s82, v3, 23                                 // 00000000A82C: D2890052 00012F03
	s_lshr_b32 s61, s82, 24                                    // 00000000A834: 8F3D9852
	s_and_b32 s82, s82, 0xffffff                               // 00000000A838: 8652FF52 00FFFFFF
	s_mul_i32 s82, s82, s71                                    // 00000000A840: 92524752
	s_mul_i32 s61, s60, s61                                    // 00000000A844: 923D3D3C
	s_add_u32 s82, s82, s61                                    // 00000000A848: 80523D52
	v_mul_lo_u32 v7, v4, s82                                   // 00000000A84C: D2850007 0000A504
	v_add_u32_e32 v79, v6, v7                                  // 00000000A854: 689E0F06
	v_readlane_b32 s82, v3, 24                                 // 00000000A858: D2890052 00013103
	s_lshr_b32 s61, s82, 24                                    // 00000000A860: 8F3D9852
	s_and_b32 s82, s82, 0xffffff                               // 00000000A864: 8652FF52 00FFFFFF
	s_mul_i32 s82, s82, s71                                    // 00000000A86C: 92524752
	s_mul_i32 s61, s60, s61                                    // 00000000A870: 923D3D3C
	s_add_u32 s82, s82, s61                                    // 00000000A874: 80523D52
	v_mul_lo_u32 v6, v5, s82                                   // 00000000A878: D2850006 0000A505
	v_readlane_b32 s82, v3, 25                                 // 00000000A880: D2890052 00013303
	s_lshr_b32 s61, s82, 24                                    // 00000000A888: 8F3D9852
	s_and_b32 s82, s82, 0xffffff                               // 00000000A88C: 8652FF52 00FFFFFF
	s_mul_i32 s82, s82, s71                                    // 00000000A894: 92524752
	s_mul_i32 s61, s60, s61                                    // 00000000A898: 923D3D3C
	s_add_u32 s82, s82, s61                                    // 00000000A89C: 80523D52
	v_mul_lo_u32 v7, v4, s82                                   // 00000000A8A0: D2850007 0000A504
	v_add_u32_e32 v80, v6, v7                                  // 00000000A8A8: 68A00F06
	v_readlane_b32 s82, v3, 26                                 // 00000000A8AC: D2890052 00013503
	s_lshr_b32 s61, s82, 24                                    // 00000000A8B4: 8F3D9852
	s_and_b32 s82, s82, 0xffffff                               // 00000000A8B8: 8652FF52 00FFFFFF
	s_mul_i32 s82, s82, s71                                    // 00000000A8C0: 92524752
	s_mul_i32 s61, s60, s61                                    // 00000000A8C4: 923D3D3C
	s_add_u32 s82, s82, s61                                    // 00000000A8C8: 80523D52
	v_mul_lo_u32 v6, v5, s82                                   // 00000000A8CC: D2850006 0000A505
	v_readlane_b32 s82, v3, 27                                 // 00000000A8D4: D2890052 00013703
	s_lshr_b32 s61, s82, 24                                    // 00000000A8DC: 8F3D9852
	s_and_b32 s82, s82, 0xffffff                               // 00000000A8E0: 8652FF52 00FFFFFF
	s_mul_i32 s82, s82, s71                                    // 00000000A8E8: 92524752
	s_mul_i32 s61, s60, s61                                    // 00000000A8EC: 923D3D3C
	s_add_u32 s82, s82, s61                                    // 00000000A8F0: 80523D52
	v_mul_lo_u32 v7, v4, s82                                   // 00000000A8F4: D2850007 0000A504
	v_add_u32_e32 v81, v6, v7                                  // 00000000A8FC: 68A20F06
	v_readlane_b32 s82, v3, 28                                 // 00000000A900: D2890052 00013903
	s_lshr_b32 s61, s82, 24                                    // 00000000A908: 8F3D9852
	s_and_b32 s82, s82, 0xffffff                               // 00000000A90C: 8652FF52 00FFFFFF
	s_mul_i32 s82, s82, s71                                    // 00000000A914: 92524752
	s_mul_i32 s61, s60, s61                                    // 00000000A918: 923D3D3C
	s_add_u32 s82, s82, s61                                    // 00000000A91C: 80523D52
	v_mul_lo_u32 v6, v5, s82                                   // 00000000A920: D2850006 0000A505
	v_readlane_b32 s82, v3, 29                                 // 00000000A928: D2890052 00013B03
	s_lshr_b32 s61, s82, 24                                    // 00000000A930: 8F3D9852
	s_and_b32 s82, s82, 0xffffff                               // 00000000A934: 8652FF52 00FFFFFF
	s_mul_i32 s82, s82, s71                                    // 00000000A93C: 92524752
	s_mul_i32 s61, s60, s61                                    // 00000000A940: 923D3D3C
	s_add_u32 s82, s82, s61                                    // 00000000A944: 80523D52
	v_mul_lo_u32 v7, v4, s82                                   // 00000000A948: D2850007 0000A504
	v_add_u32_e32 v82, v6, v7                                  // 00000000A950: 68A40F06
	v_readlane_b32 s82, v3, 30                                 // 00000000A954: D2890052 00013D03
	s_lshr_b32 s61, s82, 24                                    // 00000000A95C: 8F3D9852
	s_and_b32 s82, s82, 0xffffff                               // 00000000A960: 8652FF52 00FFFFFF
	s_mul_i32 s82, s82, s71                                    // 00000000A968: 92524752
	s_mul_i32 s61, s60, s61                                    // 00000000A96C: 923D3D3C
	s_add_u32 s82, s82, s61                                    // 00000000A970: 80523D52
	v_mul_lo_u32 v6, v5, s82                                   // 00000000A974: D2850006 0000A505
	v_readlane_b32 s82, v3, 31                                 // 00000000A97C: D2890052 00013F03
	s_lshr_b32 s61, s82, 24                                    // 00000000A984: 8F3D9852
	s_and_b32 s82, s82, 0xffffff                               // 00000000A988: 8652FF52 00FFFFFF
	s_mul_i32 s82, s82, s71                                    // 00000000A990: 92524752
	s_mul_i32 s61, s60, s61                                    // 00000000A994: 923D3D3C
	s_add_u32 s82, s82, s61                                    // 00000000A998: 80523D52
	v_mul_lo_u32 v7, v4, s82                                   // 00000000A99C: D2850007 0000A504
	v_add_u32_e32 v83, v6, v7                                  // 00000000A9A4: 68A60F06
	v_readlane_b32 s82, v3, 32                                 // 00000000A9A8: D2890052 00014103
	s_lshr_b32 s61, s82, 24                                    // 00000000A9B0: 8F3D9852
	s_and_b32 s82, s82, 0xffffff                               // 00000000A9B4: 8652FF52 00FFFFFF
	s_mul_i32 s82, s82, s71                                    // 00000000A9BC: 92524752
	s_mul_i32 s61, s60, s61                                    // 00000000A9C0: 923D3D3C
	s_add_u32 s82, s82, s61                                    // 00000000A9C4: 80523D52
	v_mul_lo_u32 v6, v5, s82                                   // 00000000A9C8: D2850006 0000A505
	v_readlane_b32 s82, v3, 33                                 // 00000000A9D0: D2890052 00014303
	s_lshr_b32 s61, s82, 24                                    // 00000000A9D8: 8F3D9852
	s_and_b32 s82, s82, 0xffffff                               // 00000000A9DC: 8652FF52 00FFFFFF
	s_mul_i32 s82, s82, s71                                    // 00000000A9E4: 92524752
	s_mul_i32 s61, s60, s61                                    // 00000000A9E8: 923D3D3C
	s_add_u32 s82, s82, s61                                    // 00000000A9EC: 80523D52
	v_mul_lo_u32 v7, v4, s82                                   // 00000000A9F0: D2850007 0000A504
	v_add_u32_e32 v84, v6, v7                                  // 00000000A9F8: 68A80F06
	v_readlane_b32 s82, v3, 34                                 // 00000000A9FC: D2890052 00014503
	s_lshr_b32 s61, s82, 24                                    // 00000000AA04: 8F3D9852
	s_and_b32 s82, s82, 0xffffff                               // 00000000AA08: 8652FF52 00FFFFFF
	s_mul_i32 s82, s82, s71                                    // 00000000AA10: 92524752
	s_mul_i32 s61, s60, s61                                    // 00000000AA14: 923D3D3C
	s_add_u32 s82, s82, s61                                    // 00000000AA18: 80523D52
	v_mul_lo_u32 v6, v5, s82                                   // 00000000AA1C: D2850006 0000A505
	v_readlane_b32 s82, v3, 35                                 // 00000000AA24: D2890052 00014703
	s_lshr_b32 s61, s82, 24                                    // 00000000AA2C: 8F3D9852
	s_and_b32 s82, s82, 0xffffff                               // 00000000AA30: 8652FF52 00FFFFFF
	s_mul_i32 s82, s82, s71                                    // 00000000AA38: 92524752
	s_mul_i32 s61, s60, s61                                    // 00000000AA3C: 923D3D3C
	s_add_u32 s82, s82, s61                                    // 00000000AA40: 80523D52
	v_mul_lo_u32 v7, v4, s82                                   // 00000000AA44: D2850007 0000A504
	v_add_u32_e32 v85, v6, v7                                  // 00000000AA4C: 68AA0F06
	v_readlane_b32 s82, v3, 36                                 // 00000000AA50: D2890052 00014903
	s_lshr_b32 s61, s82, 24                                    // 00000000AA58: 8F3D9852
	s_and_b32 s82, s82, 0xffffff                               // 00000000AA5C: 8652FF52 00FFFFFF
	s_mul_i32 s82, s82, s71                                    // 00000000AA64: 92524752
	s_mul_i32 s61, s60, s61                                    // 00000000AA68: 923D3D3C
	s_add_u32 s82, s82, s61                                    // 00000000AA6C: 80523D52
	v_mul_lo_u32 v6, v5, s82                                   // 00000000AA70: D2850006 0000A505
	v_readlane_b32 s82, v3, 37                                 // 00000000AA78: D2890052 00014B03
	s_lshr_b32 s61, s82, 24                                    // 00000000AA80: 8F3D9852
	s_and_b32 s82, s82, 0xffffff                               // 00000000AA84: 8652FF52 00FFFFFF
	s_mul_i32 s82, s82, s71                                    // 00000000AA8C: 92524752
	s_mul_i32 s61, s60, s61                                    // 00000000AA90: 923D3D3C
	s_add_u32 s82, s82, s61                                    // 00000000AA94: 80523D52
	v_mul_lo_u32 v7, v4, s82                                   // 00000000AA98: D2850007 0000A504
	v_add_u32_e32 v86, v6, v7                                  // 00000000AAA0: 68AC0F06
	v_readlane_b32 s82, v3, 38                                 // 00000000AAA4: D2890052 00014D03
	s_lshr_b32 s61, s82, 24                                    // 00000000AAAC: 8F3D9852
	s_and_b32 s82, s82, 0xffffff                               // 00000000AAB0: 8652FF52 00FFFFFF
	s_mul_i32 s82, s82, s71                                    // 00000000AAB8: 92524752
	s_mul_i32 s61, s60, s61                                    // 00000000AABC: 923D3D3C
	s_add_u32 s82, s82, s61                                    // 00000000AAC0: 80523D52
	v_mul_lo_u32 v6, v5, s82                                   // 00000000AAC4: D2850006 0000A505
	v_readlane_b32 s82, v3, 39                                 // 00000000AACC: D2890052 00014F03
	s_lshr_b32 s61, s82, 24                                    // 00000000AAD4: 8F3D9852
	s_and_b32 s82, s82, 0xffffff                               // 00000000AAD8: 8652FF52 00FFFFFF
	s_mul_i32 s82, s82, s71                                    // 00000000AAE0: 92524752
	s_mul_i32 s61, s60, s61                                    // 00000000AAE4: 923D3D3C
	s_add_u32 s82, s82, s61                                    // 00000000AAE8: 80523D52
	v_mul_lo_u32 v7, v4, s82                                   // 00000000AAEC: D2850007 0000A504
	v_add_u32_e32 v87, v6, v7                                  // 00000000AAF4: 68AE0F06
	v_and_b32_e32 v4, 31, v0                                   // 00000000AAF8: 2608009F
	v_lshrrev_b32_e32 v4, 1, v4                                // 00000000AAFC: 20080881
	s_cmp_eq_u32 s88, 0                                        // 00000000AB00: BF068058
	s_cselect_b32 s61, 2, 4                                    // 00000000AB04: 853D8482
	v_mul_lo_u32 v4, v4, s61                                   // 00000000AB08: D2850004 00007B04
	v_and_b32_e64 v5, v0, 1                                    // 00000000AB10: D1130005 00010300
	v_add_u32_e32 v4, v4, v5                                   // 00000000AB18: 68080B04
	v_lshlrev_b32_e32 v4, 2, v4                                // 00000000AB1C: 24080882
	v_add_u32_e32 v68, v68, v4                                 // 00000000AB20: 68880944
	v_add_u32_e32 v69, v69, v4                                 // 00000000AB24: 688A0945
	v_add_u32_e32 v70, v70, v4                                 // 00000000AB28: 688C0946
	v_add_u32_e32 v71, v71, v4                                 // 00000000AB2C: 688E0947
	v_add_u32_e32 v72, v72, v4                                 // 00000000AB30: 68900948
	v_add_u32_e32 v73, v73, v4                                 // 00000000AB34: 68920949
	v_add_u32_e32 v74, v74, v4                                 // 00000000AB38: 6894094A
	v_add_u32_e32 v75, v75, v4                                 // 00000000AB3C: 6896094B
	v_add_u32_e32 v76, v76, v4                                 // 00000000AB40: 6898094C
	v_add_u32_e32 v77, v77, v4                                 // 00000000AB44: 689A094D
	v_add_u32_e32 v78, v78, v4                                 // 00000000AB48: 689C094E
	v_add_u32_e32 v79, v79, v4                                 // 00000000AB4C: 689E094F
	v_add_u32_e32 v80, v80, v4                                 // 00000000AB50: 68A00950
	v_add_u32_e32 v81, v81, v4                                 // 00000000AB54: 68A20951
	v_add_u32_e32 v82, v82, v4                                 // 00000000AB58: 68A40952
	v_add_u32_e32 v83, v83, v4                                 // 00000000AB5C: 68A60953
	v_add_u32_e32 v84, v84, v4                                 // 00000000AB60: 68A80954
	v_add_u32_e32 v85, v85, v4                                 // 00000000AB64: 68AA0955
	v_add_u32_e32 v86, v86, v4                                 // 00000000AB68: 68AC0956
	v_add_u32_e32 v87, v87, v4                                 // 00000000AB6C: 68AE0957
	s_waitcnt lgkmcnt(0)                                       // 00000000AB70: BF8CC07F
	s_barrier                                                  // 00000000AB74: BF8A0000
	ds_read_b32 v92, v21                                       // 00000000AB78: D86C0000 5C000015
	ds_read_b32 v93, v21 offset:64                             // 00000000AB80: D86C0040 5D000015
	ds_read_b32 v94, v21 offset:2176                           // 00000000AB88: D86C0880 5E000015
	ds_read_b32 v95, v21 offset:2240                           // 00000000AB90: D86C08C0 5F000015
	ds_read_b32 v96, v21 offset:4352                           // 00000000AB98: D86C1100 60000015
	ds_read_b32 v97, v21 offset:4416                           // 00000000ABA0: D86C1140 61000015
	ds_read_b32 v98, v21 offset:6528                           // 00000000ABA8: D86C1980 62000015
	ds_read_b32 v99, v21 offset:6592                           // 00000000ABB0: D86C19C0 63000015
	ds_read_b32 v100, v21 offset:8704                          // 00000000ABB8: D86C2200 64000015
	ds_read_b32 v101, v21 offset:8768                          // 00000000ABC0: D86C2240 65000015
	ds_read_b32 v102, v21 offset:10880                         // 00000000ABC8: D86C2A80 66000015
	ds_read_b32 v103, v21 offset:10944                         // 00000000ABD0: D86C2AC0 67000015
	ds_read_b32 v104, v21 offset:13056                         // 00000000ABD8: D86C3300 68000015
	ds_read_b32 v105, v21 offset:13120                         // 00000000ABE0: D86C3340 69000015
	ds_read_b32 v106, v21 offset:15232                         // 00000000ABE8: D86C3B80 6A000015
	ds_read_b32 v107, v21 offset:15296                         // 00000000ABF0: D86C3BC0 6B000015
	ds_read_b32 v108, v21 offset:17408                         // 00000000ABF8: D86C4400 6C000015
	ds_read_b32 v109, v21 offset:17472                         // 00000000AC00: D86C4440 6D000015
	ds_read_b32 v110, v21 offset:19584                         // 00000000AC08: D86C4C80 6E000015
	ds_read_b32 v111, v21 offset:19648                         // 00000000AC10: D86C4CC0 6F000015
	s_waitcnt lgkmcnt(0)                                       // 00000000AC18: BF8CC07F
	s_mov_b32 s36, -1                                          // 00000000AC1C: BEA400C1
	s_mov_b32 s37, -1                                          // 00000000AC20: BEA500C1
	v_mov_b32_e32 v7, 0                                        // 00000000AC24: 7E0E0280
	s_or_b32 s9, s9, 0x40000                                   // 00000000AC28: 8709FF09 00040000
	s_mov_b64 exec, s[36:37]                                   // 00000000AC30: BEFE0124
	v_mov_b32_e32 v6, v68                                      // 00000000AC34: 7E0C0344
	s_mov_b64 s[60:61], 0                                      // 00000000AC38: BEBC0180
	v_readlane_b32 s82, v3, 0                                  // 00000000AC3C: D2890052 00010103
	s_and_b32 s82, s82, 0xffffff                               // 00000000AC44: 8652FF52 00FFFFFF
	s_cmp_lt_u32 s82, s66                                      // 00000000AC4C: BF0A4252
	s_cselect_b32 s20, s36, s60                                // 00000000AC50: 85143C24
	v_readlane_b32 s82, v3, 1                                  // 00000000AC54: D2890052 00010303
	s_and_b32 s82, s82, 0xffffff                               // 00000000AC5C: 8652FF52 00FFFFFF
	s_cmp_lt_u32 s82, s66                                      // 00000000AC64: BF0A4252
	s_cselect_b32 s21, s36, s60                                // 00000000AC68: 85153C24
	s_mov_b64 exec, s[20:21]                                   // 00000000AC6C: BEFE0114
	buffer_store_dword v92, v6, s[8:11], 0 offen               // 00000000AC70: E0701000 80025C06
	s_mov_b64 exec, s[36:37]                                   // 00000000AC78: BEFE0124
	v_mov_b32_e32 v6, v69                                      // 00000000AC7C: 7E0C0345
	s_mov_b64 s[60:61], 0                                      // 00000000AC80: BEBC0180
	v_readlane_b32 s82, v3, 2                                  // 00000000AC84: D2890052 00010503
	s_and_b32 s82, s82, 0xffffff                               // 00000000AC8C: 8652FF52 00FFFFFF
	s_cmp_lt_u32 s82, s66                                      // 00000000AC94: BF0A4252
	s_cselect_b32 s20, s36, s60                                // 00000000AC98: 85143C24
	v_readlane_b32 s82, v3, 3                                  // 00000000AC9C: D2890052 00010703
	s_and_b32 s82, s82, 0xffffff                               // 00000000ACA4: 8652FF52 00FFFFFF
	s_cmp_lt_u32 s82, s66                                      // 00000000ACAC: BF0A4252
	s_cselect_b32 s21, s36, s60                                // 00000000ACB0: 85153C24
	s_mov_b64 exec, s[20:21]                                   // 00000000ACB4: BEFE0114
	buffer_store_dword v93, v6, s[8:11], 0 offen               // 00000000ACB8: E0701000 80025D06
	s_mov_b64 exec, s[36:37]                                   // 00000000ACC0: BEFE0124
	v_mov_b32_e32 v6, v70                                      // 00000000ACC4: 7E0C0346
	s_mov_b64 s[60:61], 0                                      // 00000000ACC8: BEBC0180
	v_readlane_b32 s82, v3, 4                                  // 00000000ACCC: D2890052 00010903
	s_and_b32 s82, s82, 0xffffff                               // 00000000ACD4: 8652FF52 00FFFFFF
	s_cmp_lt_u32 s82, s66                                      // 00000000ACDC: BF0A4252
	s_cselect_b32 s20, s36, s60                                // 00000000ACE0: 85143C24
	v_readlane_b32 s82, v3, 5                                  // 00000000ACE4: D2890052 00010B03
	s_and_b32 s82, s82, 0xffffff                               // 00000000ACEC: 8652FF52 00FFFFFF
	s_cmp_lt_u32 s82, s66                                      // 00000000ACF4: BF0A4252
	s_cselect_b32 s21, s36, s60                                // 00000000ACF8: 85153C24
	s_mov_b64 exec, s[20:21]                                   // 00000000ACFC: BEFE0114
	buffer_store_dword v94, v6, s[8:11], 0 offen               // 00000000AD00: E0701000 80025E06
	s_mov_b64 exec, s[36:37]                                   // 00000000AD08: BEFE0124
	v_mov_b32_e32 v6, v71                                      // 00000000AD0C: 7E0C0347
	s_mov_b64 s[60:61], 0                                      // 00000000AD10: BEBC0180
	v_readlane_b32 s82, v3, 6                                  // 00000000AD14: D2890052 00010D03
	s_and_b32 s82, s82, 0xffffff                               // 00000000AD1C: 8652FF52 00FFFFFF
	s_cmp_lt_u32 s82, s66                                      // 00000000AD24: BF0A4252
	s_cselect_b32 s20, s36, s60                                // 00000000AD28: 85143C24
	v_readlane_b32 s82, v3, 7                                  // 00000000AD2C: D2890052 00010F03
	s_and_b32 s82, s82, 0xffffff                               // 00000000AD34: 8652FF52 00FFFFFF
	s_cmp_lt_u32 s82, s66                                      // 00000000AD3C: BF0A4252
	s_cselect_b32 s21, s36, s60                                // 00000000AD40: 85153C24
	s_mov_b64 exec, s[20:21]                                   // 00000000AD44: BEFE0114
	buffer_store_dword v95, v6, s[8:11], 0 offen               // 00000000AD48: E0701000 80025F06
	s_mov_b64 exec, s[36:37]                                   // 00000000AD50: BEFE0124
	v_mov_b32_e32 v6, v72                                      // 00000000AD54: 7E0C0348
	s_mov_b64 s[60:61], 0                                      // 00000000AD58: BEBC0180
	v_readlane_b32 s82, v3, 8                                  // 00000000AD5C: D2890052 00011103
	s_and_b32 s82, s82, 0xffffff                               // 00000000AD64: 8652FF52 00FFFFFF
	s_cmp_lt_u32 s82, s66                                      // 00000000AD6C: BF0A4252
	s_cselect_b32 s20, s36, s60                                // 00000000AD70: 85143C24
	v_readlane_b32 s82, v3, 9                                  // 00000000AD74: D2890052 00011303
	s_and_b32 s82, s82, 0xffffff                               // 00000000AD7C: 8652FF52 00FFFFFF
	s_cmp_lt_u32 s82, s66                                      // 00000000AD84: BF0A4252
	s_cselect_b32 s21, s36, s60                                // 00000000AD88: 85153C24
	s_mov_b64 exec, s[20:21]                                   // 00000000AD8C: BEFE0114
	buffer_store_dword v96, v6, s[8:11], 0 offen               // 00000000AD90: E0701000 80026006
	s_mov_b64 exec, s[36:37]                                   // 00000000AD98: BEFE0124
	v_mov_b32_e32 v6, v73                                      // 00000000AD9C: 7E0C0349
	s_mov_b64 s[60:61], 0                                      // 00000000ADA0: BEBC0180
	v_readlane_b32 s82, v3, 10                                 // 00000000ADA4: D2890052 00011503
	s_and_b32 s82, s82, 0xffffff                               // 00000000ADAC: 8652FF52 00FFFFFF
	s_cmp_lt_u32 s82, s66                                      // 00000000ADB4: BF0A4252
	s_cselect_b32 s20, s36, s60                                // 00000000ADB8: 85143C24
	v_readlane_b32 s82, v3, 11                                 // 00000000ADBC: D2890052 00011703
	s_and_b32 s82, s82, 0xffffff                               // 00000000ADC4: 8652FF52 00FFFFFF
	s_cmp_lt_u32 s82, s66                                      // 00000000ADCC: BF0A4252
	s_cselect_b32 s21, s36, s60                                // 00000000ADD0: 85153C24
	s_mov_b64 exec, s[20:21]                                   // 00000000ADD4: BEFE0114
	buffer_store_dword v97, v6, s[8:11], 0 offen               // 00000000ADD8: E0701000 80026106
	s_mov_b64 exec, s[36:37]                                   // 00000000ADE0: BEFE0124
	v_mov_b32_e32 v6, v74                                      // 00000000ADE4: 7E0C034A
	s_mov_b64 s[60:61], 0                                      // 00000000ADE8: BEBC0180
	v_readlane_b32 s82, v3, 12                                 // 00000000ADEC: D2890052 00011903
	s_and_b32 s82, s82, 0xffffff                               // 00000000ADF4: 8652FF52 00FFFFFF
	s_cmp_lt_u32 s82, s66                                      // 00000000ADFC: BF0A4252
	s_cselect_b32 s20, s36, s60                                // 00000000AE00: 85143C24
	v_readlane_b32 s82, v3, 13                                 // 00000000AE04: D2890052 00011B03
	s_and_b32 s82, s82, 0xffffff                               // 00000000AE0C: 8652FF52 00FFFFFF
	s_cmp_lt_u32 s82, s66                                      // 00000000AE14: BF0A4252
	s_cselect_b32 s21, s36, s60                                // 00000000AE18: 85153C24
	s_mov_b64 exec, s[20:21]                                   // 00000000AE1C: BEFE0114
	buffer_store_dword v98, v6, s[8:11], 0 offen               // 00000000AE20: E0701000 80026206
	s_mov_b64 exec, s[36:37]                                   // 00000000AE28: BEFE0124
	v_mov_b32_e32 v6, v75                                      // 00000000AE2C: 7E0C034B
	s_mov_b64 s[60:61], 0                                      // 00000000AE30: BEBC0180
	v_readlane_b32 s82, v3, 14                                 // 00000000AE34: D2890052 00011D03
	s_and_b32 s82, s82, 0xffffff                               // 00000000AE3C: 8652FF52 00FFFFFF
	s_cmp_lt_u32 s82, s66                                      // 00000000AE44: BF0A4252
	s_cselect_b32 s20, s36, s60                                // 00000000AE48: 85143C24
	v_readlane_b32 s82, v3, 15                                 // 00000000AE4C: D2890052 00011F03
	s_and_b32 s82, s82, 0xffffff                               // 00000000AE54: 8652FF52 00FFFFFF
	s_cmp_lt_u32 s82, s66                                      // 00000000AE5C: BF0A4252
	s_cselect_b32 s21, s36, s60                                // 00000000AE60: 85153C24
	s_mov_b64 exec, s[20:21]                                   // 00000000AE64: BEFE0114
	buffer_store_dword v99, v6, s[8:11], 0 offen               // 00000000AE68: E0701000 80026306
	s_mov_b64 exec, s[36:37]                                   // 00000000AE70: BEFE0124
	v_mov_b32_e32 v6, v76                                      // 00000000AE74: 7E0C034C
	s_mov_b64 s[60:61], 0                                      // 00000000AE78: BEBC0180
	v_readlane_b32 s82, v3, 16                                 // 00000000AE7C: D2890052 00012103
	s_and_b32 s82, s82, 0xffffff                               // 00000000AE84: 8652FF52 00FFFFFF
	s_cmp_lt_u32 s82, s66                                      // 00000000AE8C: BF0A4252
	s_cselect_b32 s20, s36, s60                                // 00000000AE90: 85143C24
	v_readlane_b32 s82, v3, 17                                 // 00000000AE94: D2890052 00012303
	s_and_b32 s82, s82, 0xffffff                               // 00000000AE9C: 8652FF52 00FFFFFF
	s_cmp_lt_u32 s82, s66                                      // 00000000AEA4: BF0A4252
	s_cselect_b32 s21, s36, s60                                // 00000000AEA8: 85153C24
	s_mov_b64 exec, s[20:21]                                   // 00000000AEAC: BEFE0114
	buffer_store_dword v100, v6, s[8:11], 0 offen              // 00000000AEB0: E0701000 80026406
	s_mov_b64 exec, s[36:37]                                   // 00000000AEB8: BEFE0124
	v_mov_b32_e32 v6, v77                                      // 00000000AEBC: 7E0C034D
	s_mov_b64 s[60:61], 0                                      // 00000000AEC0: BEBC0180
	v_readlane_b32 s82, v3, 18                                 // 00000000AEC4: D2890052 00012503
	s_and_b32 s82, s82, 0xffffff                               // 00000000AECC: 8652FF52 00FFFFFF
	s_cmp_lt_u32 s82, s66                                      // 00000000AED4: BF0A4252
	s_cselect_b32 s20, s36, s60                                // 00000000AED8: 85143C24
	v_readlane_b32 s82, v3, 19                                 // 00000000AEDC: D2890052 00012703
	s_and_b32 s82, s82, 0xffffff                               // 00000000AEE4: 8652FF52 00FFFFFF
	s_cmp_lt_u32 s82, s66                                      // 00000000AEEC: BF0A4252
	s_cselect_b32 s21, s36, s60                                // 00000000AEF0: 85153C24
	s_mov_b64 exec, s[20:21]                                   // 00000000AEF4: BEFE0114
	buffer_store_dword v101, v6, s[8:11], 0 offen              // 00000000AEF8: E0701000 80026506
	s_mov_b64 exec, s[36:37]                                   // 00000000AF00: BEFE0124
	v_mov_b32_e32 v6, v78                                      // 00000000AF04: 7E0C034E
	s_mov_b64 s[60:61], 0                                      // 00000000AF08: BEBC0180
	v_readlane_b32 s82, v3, 20                                 // 00000000AF0C: D2890052 00012903
	s_and_b32 s82, s82, 0xffffff                               // 00000000AF14: 8652FF52 00FFFFFF
	s_cmp_lt_u32 s82, s66                                      // 00000000AF1C: BF0A4252
	s_cselect_b32 s20, s36, s60                                // 00000000AF20: 85143C24
	v_readlane_b32 s82, v3, 21                                 // 00000000AF24: D2890052 00012B03
	s_and_b32 s82, s82, 0xffffff                               // 00000000AF2C: 8652FF52 00FFFFFF
	s_cmp_lt_u32 s82, s66                                      // 00000000AF34: BF0A4252
	s_cselect_b32 s21, s36, s60                                // 00000000AF38: 85153C24
	s_mov_b64 exec, s[20:21]                                   // 00000000AF3C: BEFE0114
	buffer_store_dword v102, v6, s[8:11], 0 offen              // 00000000AF40: E0701000 80026606
	s_mov_b64 exec, s[36:37]                                   // 00000000AF48: BEFE0124
	v_mov_b32_e32 v6, v79                                      // 00000000AF4C: 7E0C034F
	s_mov_b64 s[60:61], 0                                      // 00000000AF50: BEBC0180
	v_readlane_b32 s82, v3, 22                                 // 00000000AF54: D2890052 00012D03
	s_and_b32 s82, s82, 0xffffff                               // 00000000AF5C: 8652FF52 00FFFFFF
	s_cmp_lt_u32 s82, s66                                      // 00000000AF64: BF0A4252
	s_cselect_b32 s20, s36, s60                                // 00000000AF68: 85143C24
	v_readlane_b32 s82, v3, 23                                 // 00000000AF6C: D2890052 00012F03
	s_and_b32 s82, s82, 0xffffff                               // 00000000AF74: 8652FF52 00FFFFFF
	s_cmp_lt_u32 s82, s66                                      // 00000000AF7C: BF0A4252
	s_cselect_b32 s21, s36, s60                                // 00000000AF80: 85153C24
	s_mov_b64 exec, s[20:21]                                   // 00000000AF84: BEFE0114
	buffer_store_dword v103, v6, s[8:11], 0 offen              // 00000000AF88: E0701000 80026706
	s_mov_b64 exec, s[36:37]                                   // 00000000AF90: BEFE0124
	v_mov_b32_e32 v6, v80                                      // 00000000AF94: 7E0C0350
	s_mov_b64 s[60:61], 0                                      // 00000000AF98: BEBC0180
	v_readlane_b32 s82, v3, 24                                 // 00000000AF9C: D2890052 00013103
	s_and_b32 s82, s82, 0xffffff                               // 00000000AFA4: 8652FF52 00FFFFFF
	s_cmp_lt_u32 s82, s66                                      // 00000000AFAC: BF0A4252
	s_cselect_b32 s20, s36, s60                                // 00000000AFB0: 85143C24
	v_readlane_b32 s82, v3, 25                                 // 00000000AFB4: D2890052 00013303
	s_and_b32 s82, s82, 0xffffff                               // 00000000AFBC: 8652FF52 00FFFFFF
	s_cmp_lt_u32 s82, s66                                      // 00000000AFC4: BF0A4252
	s_cselect_b32 s21, s36, s60                                // 00000000AFC8: 85153C24
	s_mov_b64 exec, s[20:21]                                   // 00000000AFCC: BEFE0114
	buffer_store_dword v104, v6, s[8:11], 0 offen              // 00000000AFD0: E0701000 80026806
	s_mov_b64 exec, s[36:37]                                   // 00000000AFD8: BEFE0124
	v_mov_b32_e32 v6, v81                                      // 00000000AFDC: 7E0C0351
	s_mov_b64 s[60:61], 0                                      // 00000000AFE0: BEBC0180
	v_readlane_b32 s82, v3, 26                                 // 00000000AFE4: D2890052 00013503
	s_and_b32 s82, s82, 0xffffff                               // 00000000AFEC: 8652FF52 00FFFFFF
	s_cmp_lt_u32 s82, s66                                      // 00000000AFF4: BF0A4252
	s_cselect_b32 s20, s36, s60                                // 00000000AFF8: 85143C24
	v_readlane_b32 s82, v3, 27                                 // 00000000AFFC: D2890052 00013703
	s_and_b32 s82, s82, 0xffffff                               // 00000000B004: 8652FF52 00FFFFFF
	s_cmp_lt_u32 s82, s66                                      // 00000000B00C: BF0A4252
	s_cselect_b32 s21, s36, s60                                // 00000000B010: 85153C24
	s_mov_b64 exec, s[20:21]                                   // 00000000B014: BEFE0114
	buffer_store_dword v105, v6, s[8:11], 0 offen              // 00000000B018: E0701000 80026906
	s_mov_b64 exec, s[36:37]                                   // 00000000B020: BEFE0124
	v_mov_b32_e32 v6, v82                                      // 00000000B024: 7E0C0352
	s_mov_b64 s[60:61], 0                                      // 00000000B028: BEBC0180
	v_readlane_b32 s82, v3, 28                                 // 00000000B02C: D2890052 00013903
	s_and_b32 s82, s82, 0xffffff                               // 00000000B034: 8652FF52 00FFFFFF
	s_cmp_lt_u32 s82, s66                                      // 00000000B03C: BF0A4252
	s_cselect_b32 s20, s36, s60                                // 00000000B040: 85143C24
	v_readlane_b32 s82, v3, 29                                 // 00000000B044: D2890052 00013B03
	s_and_b32 s82, s82, 0xffffff                               // 00000000B04C: 8652FF52 00FFFFFF
	s_cmp_lt_u32 s82, s66                                      // 00000000B054: BF0A4252
	s_cselect_b32 s21, s36, s60                                // 00000000B058: 85153C24
	s_mov_b64 exec, s[20:21]                                   // 00000000B05C: BEFE0114
	buffer_store_dword v106, v6, s[8:11], 0 offen              // 00000000B060: E0701000 80026A06
	s_mov_b64 exec, s[36:37]                                   // 00000000B068: BEFE0124
	v_mov_b32_e32 v6, v83                                      // 00000000B06C: 7E0C0353
	s_mov_b64 s[60:61], 0                                      // 00000000B070: BEBC0180
	v_readlane_b32 s82, v3, 30                                 // 00000000B074: D2890052 00013D03
	s_and_b32 s82, s82, 0xffffff                               // 00000000B07C: 8652FF52 00FFFFFF
	s_cmp_lt_u32 s82, s66                                      // 00000000B084: BF0A4252
	s_cselect_b32 s20, s36, s60                                // 00000000B088: 85143C24
	v_readlane_b32 s82, v3, 31                                 // 00000000B08C: D2890052 00013F03
	s_and_b32 s82, s82, 0xffffff                               // 00000000B094: 8652FF52 00FFFFFF
	s_cmp_lt_u32 s82, s66                                      // 00000000B09C: BF0A4252
	s_cselect_b32 s21, s36, s60                                // 00000000B0A0: 85153C24
	s_mov_b64 exec, s[20:21]                                   // 00000000B0A4: BEFE0114
	buffer_store_dword v107, v6, s[8:11], 0 offen              // 00000000B0A8: E0701000 80026B06
	s_mov_b64 exec, s[36:37]                                   // 00000000B0B0: BEFE0124
	v_mov_b32_e32 v6, v84                                      // 00000000B0B4: 7E0C0354
	s_mov_b64 s[60:61], 0                                      // 00000000B0B8: BEBC0180
	v_readlane_b32 s82, v3, 32                                 // 00000000B0BC: D2890052 00014103
	s_and_b32 s82, s82, 0xffffff                               // 00000000B0C4: 8652FF52 00FFFFFF
	s_cmp_lt_u32 s82, s66                                      // 00000000B0CC: BF0A4252
	s_cselect_b32 s20, s36, s60                                // 00000000B0D0: 85143C24
	v_readlane_b32 s82, v3, 33                                 // 00000000B0D4: D2890052 00014303
	s_and_b32 s82, s82, 0xffffff                               // 00000000B0DC: 8652FF52 00FFFFFF
	s_cmp_lt_u32 s82, s66                                      // 00000000B0E4: BF0A4252
	s_cselect_b32 s21, s36, s60                                // 00000000B0E8: 85153C24
	s_mov_b64 exec, s[20:21]                                   // 00000000B0EC: BEFE0114
	buffer_store_dword v108, v6, s[8:11], 0 offen              // 00000000B0F0: E0701000 80026C06
	s_mov_b64 exec, s[36:37]                                   // 00000000B0F8: BEFE0124
	v_mov_b32_e32 v6, v85                                      // 00000000B0FC: 7E0C0355
	s_mov_b64 s[60:61], 0                                      // 00000000B100: BEBC0180
	v_readlane_b32 s82, v3, 34                                 // 00000000B104: D2890052 00014503
	s_and_b32 s82, s82, 0xffffff                               // 00000000B10C: 8652FF52 00FFFFFF
	s_cmp_lt_u32 s82, s66                                      // 00000000B114: BF0A4252
	s_cselect_b32 s20, s36, s60                                // 00000000B118: 85143C24
	v_readlane_b32 s82, v3, 35                                 // 00000000B11C: D2890052 00014703
	s_and_b32 s82, s82, 0xffffff                               // 00000000B124: 8652FF52 00FFFFFF
	s_cmp_lt_u32 s82, s66                                      // 00000000B12C: BF0A4252
	s_cselect_b32 s21, s36, s60                                // 00000000B130: 85153C24
	s_mov_b64 exec, s[20:21]                                   // 00000000B134: BEFE0114
	buffer_store_dword v109, v6, s[8:11], 0 offen              // 00000000B138: E0701000 80026D06
	s_mov_b64 exec, s[36:37]                                   // 00000000B140: BEFE0124
	v_mov_b32_e32 v6, v86                                      // 00000000B144: 7E0C0356
	s_mov_b64 s[60:61], 0                                      // 00000000B148: BEBC0180
	v_readlane_b32 s82, v3, 36                                 // 00000000B14C: D2890052 00014903
	s_and_b32 s82, s82, 0xffffff                               // 00000000B154: 8652FF52 00FFFFFF
	s_cmp_lt_u32 s82, s66                                      // 00000000B15C: BF0A4252
	s_cselect_b32 s20, s36, s60                                // 00000000B160: 85143C24
	v_readlane_b32 s82, v3, 37                                 // 00000000B164: D2890052 00014B03
	s_and_b32 s82, s82, 0xffffff                               // 00000000B16C: 8652FF52 00FFFFFF
	s_cmp_lt_u32 s82, s66                                      // 00000000B174: BF0A4252
	s_cselect_b32 s21, s36, s60                                // 00000000B178: 85153C24
	s_mov_b64 exec, s[20:21]                                   // 00000000B17C: BEFE0114
	buffer_store_dword v110, v6, s[8:11], 0 offen              // 00000000B180: E0701000 80026E06
	s_mov_b64 exec, s[36:37]                                   // 00000000B188: BEFE0124
	v_mov_b32_e32 v6, v87                                      // 00000000B18C: 7E0C0357
	s_mov_b64 s[60:61], 0                                      // 00000000B190: BEBC0180
	v_readlane_b32 s82, v3, 38                                 // 00000000B194: D2890052 00014D03
	s_and_b32 s82, s82, 0xffffff                               // 00000000B19C: 8652FF52 00FFFFFF
	s_cmp_lt_u32 s82, s66                                      // 00000000B1A4: BF0A4252
	s_cselect_b32 s20, s36, s60                                // 00000000B1A8: 85143C24
	v_readlane_b32 s82, v3, 39                                 // 00000000B1AC: D2890052 00014F03
	s_and_b32 s82, s82, 0xffffff                               // 00000000B1B4: 8652FF52 00FFFFFF
	s_cmp_lt_u32 s82, s66                                      // 00000000B1BC: BF0A4252
	s_cselect_b32 s21, s36, s60                                // 00000000B1C0: 85153C24
	s_mov_b64 exec, s[20:21]                                   // 00000000B1C4: BEFE0114
	buffer_store_dword v111, v6, s[8:11], 0 offen              // 00000000B1C8: E0701000 80026F06
	s_mov_b64 exec, s[36:37]                                   // 00000000B1D0: BEFE0124
	s_branch label_2A6B                                        // 00000000B1D4: BF820872

000000000000b1d8 <label_21F9>:
	ds_write_b64 v20, v[92:93]                                 // 00000000B1D8: D89A0000 00005C14
	ds_write_b64 v20, v[96:97] offset:2176                     // 00000000B1E0: D89A0880 00006014
	ds_write_b64 v20, v[100:101] offset:4352                   // 00000000B1E8: D89A1100 00006414
	ds_write_b64 v20, v[104:105] offset:6528                   // 00000000B1F0: D89A1980 00006814
	ds_write_b64 v20, v[108:109] offset:8704                   // 00000000B1F8: D89A2200 00006C14
	ds_write_b64 v20, v[112:113] offset:10880                  // 00000000B200: D89A2A80 00007014
	ds_write_b64 v20, v[116:117] offset:13056                  // 00000000B208: D89A3300 00007414
	ds_write_b64 v20, v[120:121] offset:15232                  // 00000000B210: D89A3B80 00007814
	ds_write_b64 v20, v[124:125] offset:17408                  // 00000000B218: D89A4400 00007C14
	ds_write_b64 v20, v[128:129] offset:19584                  // 00000000B220: D89A4C80 00008014
	v_lshrrev_b32_e32 v4, 5, v0                                // 00000000B228: 20080085
	v_xor_b32_e32 v5, 1, v4                                    // 00000000B22C: 2A0A0881
	s_mul_i32 s60, s65, 2                                      // 00000000B230: 923C8241
	s_cmp_eq_u32 s88, 0                                        // 00000000B234: BF068058
	s_cselect_b32 s61, 1, 4                                    // 00000000B238: 853D8481
	s_mul_i32 s60, s61, s60                                    // 00000000B23C: 923C3C3D
	v_readlane_b32 s82, v3, 0                                  // 00000000B240: D2890052 00010103
	s_lshr_b32 s61, s82, 24                                    // 00000000B248: 8F3D9852
	s_and_b32 s82, s82, 0xffffff                               // 00000000B24C: 8652FF52 00FFFFFF
	s_mul_i32 s82, s82, s71                                    // 00000000B254: 92524752
	s_mul_i32 s61, s60, s61                                    // 00000000B258: 923D3D3C
	s_add_u32 s82, s82, s61                                    // 00000000B25C: 80523D52
	v_mul_lo_u32 v6, v5, s82                                   // 00000000B260: D2850006 0000A505
	v_readlane_b32 s82, v3, 1                                  // 00000000B268: D2890052 00010303
	s_lshr_b32 s61, s82, 24                                    // 00000000B270: 8F3D9852
	s_and_b32 s82, s82, 0xffffff                               // 00000000B274: 8652FF52 00FFFFFF
	s_mul_i32 s82, s82, s71                                    // 00000000B27C: 92524752
	s_mul_i32 s61, s60, s61                                    // 00000000B280: 923D3D3C
	s_add_u32 s82, s82, s61                                    // 00000000B284: 80523D52
	v_mul_lo_u32 v7, v4, s82                                   // 00000000B288: D2850007 0000A504
	v_add_u32_e32 v68, v6, v7                                  // 00000000B290: 68880F06
	v_readlane_b32 s82, v3, 2                                  // 00000000B294: D2890052 00010503
	s_lshr_b32 s61, s82, 24                                    // 00000000B29C: 8F3D9852
	s_and_b32 s82, s82, 0xffffff                               // 00000000B2A0: 8652FF52 00FFFFFF
	s_mul_i32 s82, s82, s71                                    // 00000000B2A8: 92524752
	s_mul_i32 s61, s60, s61                                    // 00000000B2AC: 923D3D3C
	s_add_u32 s82, s82, s61                                    // 00000000B2B0: 80523D52
	v_mul_lo_u32 v6, v5, s82                                   // 00000000B2B4: D2850006 0000A505
	v_readlane_b32 s82, v3, 3                                  // 00000000B2BC: D2890052 00010703
	s_lshr_b32 s61, s82, 24                                    // 00000000B2C4: 8F3D9852
	s_and_b32 s82, s82, 0xffffff                               // 00000000B2C8: 8652FF52 00FFFFFF
	s_mul_i32 s82, s82, s71                                    // 00000000B2D0: 92524752
	s_mul_i32 s61, s60, s61                                    // 00000000B2D4: 923D3D3C
	s_add_u32 s82, s82, s61                                    // 00000000B2D8: 80523D52
	v_mul_lo_u32 v7, v4, s82                                   // 00000000B2DC: D2850007 0000A504
	v_add_u32_e32 v69, v6, v7                                  // 00000000B2E4: 688A0F06
	v_readlane_b32 s82, v3, 4                                  // 00000000B2E8: D2890052 00010903
	s_lshr_b32 s61, s82, 24                                    // 00000000B2F0: 8F3D9852
	s_and_b32 s82, s82, 0xffffff                               // 00000000B2F4: 8652FF52 00FFFFFF
	s_mul_i32 s82, s82, s71                                    // 00000000B2FC: 92524752
	s_mul_i32 s61, s60, s61                                    // 00000000B300: 923D3D3C
	s_add_u32 s82, s82, s61                                    // 00000000B304: 80523D52
	v_mul_lo_u32 v6, v5, s82                                   // 00000000B308: D2850006 0000A505
	v_readlane_b32 s82, v3, 5                                  // 00000000B310: D2890052 00010B03
	s_lshr_b32 s61, s82, 24                                    // 00000000B318: 8F3D9852
	s_and_b32 s82, s82, 0xffffff                               // 00000000B31C: 8652FF52 00FFFFFF
	s_mul_i32 s82, s82, s71                                    // 00000000B324: 92524752
	s_mul_i32 s61, s60, s61                                    // 00000000B328: 923D3D3C
	s_add_u32 s82, s82, s61                                    // 00000000B32C: 80523D52
	v_mul_lo_u32 v7, v4, s82                                   // 00000000B330: D2850007 0000A504
	v_add_u32_e32 v70, v6, v7                                  // 00000000B338: 688C0F06
	v_readlane_b32 s82, v3, 6                                  // 00000000B33C: D2890052 00010D03
	s_lshr_b32 s61, s82, 24                                    // 00000000B344: 8F3D9852
	s_and_b32 s82, s82, 0xffffff                               // 00000000B348: 8652FF52 00FFFFFF
	s_mul_i32 s82, s82, s71                                    // 00000000B350: 92524752
	s_mul_i32 s61, s60, s61                                    // 00000000B354: 923D3D3C
	s_add_u32 s82, s82, s61                                    // 00000000B358: 80523D52
	v_mul_lo_u32 v6, v5, s82                                   // 00000000B35C: D2850006 0000A505
	v_readlane_b32 s82, v3, 7                                  // 00000000B364: D2890052 00010F03
	s_lshr_b32 s61, s82, 24                                    // 00000000B36C: 8F3D9852
	s_and_b32 s82, s82, 0xffffff                               // 00000000B370: 8652FF52 00FFFFFF
	s_mul_i32 s82, s82, s71                                    // 00000000B378: 92524752
	s_mul_i32 s61, s60, s61                                    // 00000000B37C: 923D3D3C
	s_add_u32 s82, s82, s61                                    // 00000000B380: 80523D52
	v_mul_lo_u32 v7, v4, s82                                   // 00000000B384: D2850007 0000A504
	v_add_u32_e32 v71, v6, v7                                  // 00000000B38C: 688E0F06
	v_readlane_b32 s82, v3, 8                                  // 00000000B390: D2890052 00011103
	s_lshr_b32 s61, s82, 24                                    // 00000000B398: 8F3D9852
	s_and_b32 s82, s82, 0xffffff                               // 00000000B39C: 8652FF52 00FFFFFF
	s_mul_i32 s82, s82, s71                                    // 00000000B3A4: 92524752
	s_mul_i32 s61, s60, s61                                    // 00000000B3A8: 923D3D3C
	s_add_u32 s82, s82, s61                                    // 00000000B3AC: 80523D52
	v_mul_lo_u32 v6, v5, s82                                   // 00000000B3B0: D2850006 0000A505
	v_readlane_b32 s82, v3, 9                                  // 00000000B3B8: D2890052 00011303
	s_lshr_b32 s61, s82, 24                                    // 00000000B3C0: 8F3D9852
	s_and_b32 s82, s82, 0xffffff                               // 00000000B3C4: 8652FF52 00FFFFFF
	s_mul_i32 s82, s82, s71                                    // 00000000B3CC: 92524752
	s_mul_i32 s61, s60, s61                                    // 00000000B3D0: 923D3D3C
	s_add_u32 s82, s82, s61                                    // 00000000B3D4: 80523D52
	v_mul_lo_u32 v7, v4, s82                                   // 00000000B3D8: D2850007 0000A504
	v_add_u32_e32 v72, v6, v7                                  // 00000000B3E0: 68900F06
	v_readlane_b32 s82, v3, 10                                 // 00000000B3E4: D2890052 00011503
	s_lshr_b32 s61, s82, 24                                    // 00000000B3EC: 8F3D9852
	s_and_b32 s82, s82, 0xffffff                               // 00000000B3F0: 8652FF52 00FFFFFF
	s_mul_i32 s82, s82, s71                                    // 00000000B3F8: 92524752
	s_mul_i32 s61, s60, s61                                    // 00000000B3FC: 923D3D3C
	s_add_u32 s82, s82, s61                                    // 00000000B400: 80523D52
	v_mul_lo_u32 v6, v5, s82                                   // 00000000B404: D2850006 0000A505
	v_readlane_b32 s82, v3, 11                                 // 00000000B40C: D2890052 00011703
	s_lshr_b32 s61, s82, 24                                    // 00000000B414: 8F3D9852
	s_and_b32 s82, s82, 0xffffff                               // 00000000B418: 8652FF52 00FFFFFF
	s_mul_i32 s82, s82, s71                                    // 00000000B420: 92524752
	s_mul_i32 s61, s60, s61                                    // 00000000B424: 923D3D3C
	s_add_u32 s82, s82, s61                                    // 00000000B428: 80523D52
	v_mul_lo_u32 v7, v4, s82                                   // 00000000B42C: D2850007 0000A504
	v_add_u32_e32 v73, v6, v7                                  // 00000000B434: 68920F06
	v_readlane_b32 s82, v3, 12                                 // 00000000B438: D2890052 00011903
	s_lshr_b32 s61, s82, 24                                    // 00000000B440: 8F3D9852
	s_and_b32 s82, s82, 0xffffff                               // 00000000B444: 8652FF52 00FFFFFF
	s_mul_i32 s82, s82, s71                                    // 00000000B44C: 92524752
	s_mul_i32 s61, s60, s61                                    // 00000000B450: 923D3D3C
	s_add_u32 s82, s82, s61                                    // 00000000B454: 80523D52
	v_mul_lo_u32 v6, v5, s82                                   // 00000000B458: D2850006 0000A505
	v_readlane_b32 s82, v3, 13                                 // 00000000B460: D2890052 00011B03
	s_lshr_b32 s61, s82, 24                                    // 00000000B468: 8F3D9852
	s_and_b32 s82, s82, 0xffffff                               // 00000000B46C: 8652FF52 00FFFFFF
	s_mul_i32 s82, s82, s71                                    // 00000000B474: 92524752
	s_mul_i32 s61, s60, s61                                    // 00000000B478: 923D3D3C
	s_add_u32 s82, s82, s61                                    // 00000000B47C: 80523D52
	v_mul_lo_u32 v7, v4, s82                                   // 00000000B480: D2850007 0000A504
	v_add_u32_e32 v74, v6, v7                                  // 00000000B488: 68940F06
	v_readlane_b32 s82, v3, 14                                 // 00000000B48C: D2890052 00011D03
	s_lshr_b32 s61, s82, 24                                    // 00000000B494: 8F3D9852
	s_and_b32 s82, s82, 0xffffff                               // 00000000B498: 8652FF52 00FFFFFF
	s_mul_i32 s82, s82, s71                                    // 00000000B4A0: 92524752
	s_mul_i32 s61, s60, s61                                    // 00000000B4A4: 923D3D3C
	s_add_u32 s82, s82, s61                                    // 00000000B4A8: 80523D52
	v_mul_lo_u32 v6, v5, s82                                   // 00000000B4AC: D2850006 0000A505
	v_readlane_b32 s82, v3, 15                                 // 00000000B4B4: D2890052 00011F03
	s_lshr_b32 s61, s82, 24                                    // 00000000B4BC: 8F3D9852
	s_and_b32 s82, s82, 0xffffff                               // 00000000B4C0: 8652FF52 00FFFFFF
	s_mul_i32 s82, s82, s71                                    // 00000000B4C8: 92524752
	s_mul_i32 s61, s60, s61                                    // 00000000B4CC: 923D3D3C
	s_add_u32 s82, s82, s61                                    // 00000000B4D0: 80523D52
	v_mul_lo_u32 v7, v4, s82                                   // 00000000B4D4: D2850007 0000A504
	v_add_u32_e32 v75, v6, v7                                  // 00000000B4DC: 68960F06
	v_readlane_b32 s82, v3, 16                                 // 00000000B4E0: D2890052 00012103
	s_lshr_b32 s61, s82, 24                                    // 00000000B4E8: 8F3D9852
	s_and_b32 s82, s82, 0xffffff                               // 00000000B4EC: 8652FF52 00FFFFFF
	s_mul_i32 s82, s82, s71                                    // 00000000B4F4: 92524752
	s_mul_i32 s61, s60, s61                                    // 00000000B4F8: 923D3D3C
	s_add_u32 s82, s82, s61                                    // 00000000B4FC: 80523D52
	v_mul_lo_u32 v6, v5, s82                                   // 00000000B500: D2850006 0000A505
	v_readlane_b32 s82, v3, 17                                 // 00000000B508: D2890052 00012303
	s_lshr_b32 s61, s82, 24                                    // 00000000B510: 8F3D9852
	s_and_b32 s82, s82, 0xffffff                               // 00000000B514: 8652FF52 00FFFFFF
	s_mul_i32 s82, s82, s71                                    // 00000000B51C: 92524752
	s_mul_i32 s61, s60, s61                                    // 00000000B520: 923D3D3C
	s_add_u32 s82, s82, s61                                    // 00000000B524: 80523D52
	v_mul_lo_u32 v7, v4, s82                                   // 00000000B528: D2850007 0000A504
	v_add_u32_e32 v76, v6, v7                                  // 00000000B530: 68980F06
	v_readlane_b32 s82, v3, 18                                 // 00000000B534: D2890052 00012503
	s_lshr_b32 s61, s82, 24                                    // 00000000B53C: 8F3D9852
	s_and_b32 s82, s82, 0xffffff                               // 00000000B540: 8652FF52 00FFFFFF
	s_mul_i32 s82, s82, s71                                    // 00000000B548: 92524752
	s_mul_i32 s61, s60, s61                                    // 00000000B54C: 923D3D3C
	s_add_u32 s82, s82, s61                                    // 00000000B550: 80523D52
	v_mul_lo_u32 v6, v5, s82                                   // 00000000B554: D2850006 0000A505
	v_readlane_b32 s82, v3, 19                                 // 00000000B55C: D2890052 00012703
	s_lshr_b32 s61, s82, 24                                    // 00000000B564: 8F3D9852
	s_and_b32 s82, s82, 0xffffff                               // 00000000B568: 8652FF52 00FFFFFF
	s_mul_i32 s82, s82, s71                                    // 00000000B570: 92524752
	s_mul_i32 s61, s60, s61                                    // 00000000B574: 923D3D3C
	s_add_u32 s82, s82, s61                                    // 00000000B578: 80523D52
	v_mul_lo_u32 v7, v4, s82                                   // 00000000B57C: D2850007 0000A504
	v_add_u32_e32 v77, v6, v7                                  // 00000000B584: 689A0F06
	v_readlane_b32 s82, v3, 20                                 // 00000000B588: D2890052 00012903
	s_lshr_b32 s61, s82, 24                                    // 00000000B590: 8F3D9852
	s_and_b32 s82, s82, 0xffffff                               // 00000000B594: 8652FF52 00FFFFFF
	s_mul_i32 s82, s82, s71                                    // 00000000B59C: 92524752
	s_mul_i32 s61, s60, s61                                    // 00000000B5A0: 923D3D3C
	s_add_u32 s82, s82, s61                                    // 00000000B5A4: 80523D52
	v_mul_lo_u32 v6, v5, s82                                   // 00000000B5A8: D2850006 0000A505
	v_readlane_b32 s82, v3, 21                                 // 00000000B5B0: D2890052 00012B03
	s_lshr_b32 s61, s82, 24                                    // 00000000B5B8: 8F3D9852
	s_and_b32 s82, s82, 0xffffff                               // 00000000B5BC: 8652FF52 00FFFFFF
	s_mul_i32 s82, s82, s71                                    // 00000000B5C4: 92524752
	s_mul_i32 s61, s60, s61                                    // 00000000B5C8: 923D3D3C
	s_add_u32 s82, s82, s61                                    // 00000000B5CC: 80523D52
	v_mul_lo_u32 v7, v4, s82                                   // 00000000B5D0: D2850007 0000A504
	v_add_u32_e32 v78, v6, v7                                  // 00000000B5D8: 689C0F06
	v_readlane_b32 s82, v3, 22                                 // 00000000B5DC: D2890052 00012D03
	s_lshr_b32 s61, s82, 24                                    // 00000000B5E4: 8F3D9852
	s_and_b32 s82, s82, 0xffffff                               // 00000000B5E8: 8652FF52 00FFFFFF
	s_mul_i32 s82, s82, s71                                    // 00000000B5F0: 92524752
	s_mul_i32 s61, s60, s61                                    // 00000000B5F4: 923D3D3C
	s_add_u32 s82, s82, s61                                    // 00000000B5F8: 80523D52
	v_mul_lo_u32 v6, v5, s82                                   // 00000000B5FC: D2850006 0000A505
	v_readlane_b32 s82, v3, 23                                 // 00000000B604: D2890052 00012F03
	s_lshr_b32 s61, s82, 24                                    // 00000000B60C: 8F3D9852
	s_and_b32 s82, s82, 0xffffff                               // 00000000B610: 8652FF52 00FFFFFF
	s_mul_i32 s82, s82, s71                                    // 00000000B618: 92524752
	s_mul_i32 s61, s60, s61                                    // 00000000B61C: 923D3D3C
	s_add_u32 s82, s82, s61                                    // 00000000B620: 80523D52
	v_mul_lo_u32 v7, v4, s82                                   // 00000000B624: D2850007 0000A504
	v_add_u32_e32 v79, v6, v7                                  // 00000000B62C: 689E0F06
	v_readlane_b32 s82, v3, 24                                 // 00000000B630: D2890052 00013103
	s_lshr_b32 s61, s82, 24                                    // 00000000B638: 8F3D9852
	s_and_b32 s82, s82, 0xffffff                               // 00000000B63C: 8652FF52 00FFFFFF
	s_mul_i32 s82, s82, s71                                    // 00000000B644: 92524752
	s_mul_i32 s61, s60, s61                                    // 00000000B648: 923D3D3C
	s_add_u32 s82, s82, s61                                    // 00000000B64C: 80523D52
	v_mul_lo_u32 v6, v5, s82                                   // 00000000B650: D2850006 0000A505
	v_readlane_b32 s82, v3, 25                                 // 00000000B658: D2890052 00013303
	s_lshr_b32 s61, s82, 24                                    // 00000000B660: 8F3D9852
	s_and_b32 s82, s82, 0xffffff                               // 00000000B664: 8652FF52 00FFFFFF
	s_mul_i32 s82, s82, s71                                    // 00000000B66C: 92524752
	s_mul_i32 s61, s60, s61                                    // 00000000B670: 923D3D3C
	s_add_u32 s82, s82, s61                                    // 00000000B674: 80523D52
	v_mul_lo_u32 v7, v4, s82                                   // 00000000B678: D2850007 0000A504
	v_add_u32_e32 v80, v6, v7                                  // 00000000B680: 68A00F06
	v_readlane_b32 s82, v3, 26                                 // 00000000B684: D2890052 00013503
	s_lshr_b32 s61, s82, 24                                    // 00000000B68C: 8F3D9852
	s_and_b32 s82, s82, 0xffffff                               // 00000000B690: 8652FF52 00FFFFFF
	s_mul_i32 s82, s82, s71                                    // 00000000B698: 92524752
	s_mul_i32 s61, s60, s61                                    // 00000000B69C: 923D3D3C
	s_add_u32 s82, s82, s61                                    // 00000000B6A0: 80523D52
	v_mul_lo_u32 v6, v5, s82                                   // 00000000B6A4: D2850006 0000A505
	v_readlane_b32 s82, v3, 27                                 // 00000000B6AC: D2890052 00013703
	s_lshr_b32 s61, s82, 24                                    // 00000000B6B4: 8F3D9852
	s_and_b32 s82, s82, 0xffffff                               // 00000000B6B8: 8652FF52 00FFFFFF
	s_mul_i32 s82, s82, s71                                    // 00000000B6C0: 92524752
	s_mul_i32 s61, s60, s61                                    // 00000000B6C4: 923D3D3C
	s_add_u32 s82, s82, s61                                    // 00000000B6C8: 80523D52
	v_mul_lo_u32 v7, v4, s82                                   // 00000000B6CC: D2850007 0000A504
	v_add_u32_e32 v81, v6, v7                                  // 00000000B6D4: 68A20F06
	v_readlane_b32 s82, v3, 28                                 // 00000000B6D8: D2890052 00013903
	s_lshr_b32 s61, s82, 24                                    // 00000000B6E0: 8F3D9852
	s_and_b32 s82, s82, 0xffffff                               // 00000000B6E4: 8652FF52 00FFFFFF
	s_mul_i32 s82, s82, s71                                    // 00000000B6EC: 92524752
	s_mul_i32 s61, s60, s61                                    // 00000000B6F0: 923D3D3C
	s_add_u32 s82, s82, s61                                    // 00000000B6F4: 80523D52
	v_mul_lo_u32 v6, v5, s82                                   // 00000000B6F8: D2850006 0000A505
	v_readlane_b32 s82, v3, 29                                 // 00000000B700: D2890052 00013B03
	s_lshr_b32 s61, s82, 24                                    // 00000000B708: 8F3D9852
	s_and_b32 s82, s82, 0xffffff                               // 00000000B70C: 8652FF52 00FFFFFF
	s_mul_i32 s82, s82, s71                                    // 00000000B714: 92524752
	s_mul_i32 s61, s60, s61                                    // 00000000B718: 923D3D3C
	s_add_u32 s82, s82, s61                                    // 00000000B71C: 80523D52
	v_mul_lo_u32 v7, v4, s82                                   // 00000000B720: D2850007 0000A504
	v_add_u32_e32 v82, v6, v7                                  // 00000000B728: 68A40F06
	v_readlane_b32 s82, v3, 30                                 // 00000000B72C: D2890052 00013D03
	s_lshr_b32 s61, s82, 24                                    // 00000000B734: 8F3D9852
	s_and_b32 s82, s82, 0xffffff                               // 00000000B738: 8652FF52 00FFFFFF
	s_mul_i32 s82, s82, s71                                    // 00000000B740: 92524752
	s_mul_i32 s61, s60, s61                                    // 00000000B744: 923D3D3C
	s_add_u32 s82, s82, s61                                    // 00000000B748: 80523D52
	v_mul_lo_u32 v6, v5, s82                                   // 00000000B74C: D2850006 0000A505
	v_readlane_b32 s82, v3, 31                                 // 00000000B754: D2890052 00013F03
	s_lshr_b32 s61, s82, 24                                    // 00000000B75C: 8F3D9852
	s_and_b32 s82, s82, 0xffffff                               // 00000000B760: 8652FF52 00FFFFFF
	s_mul_i32 s82, s82, s71                                    // 00000000B768: 92524752
	s_mul_i32 s61, s60, s61                                    // 00000000B76C: 923D3D3C
	s_add_u32 s82, s82, s61                                    // 00000000B770: 80523D52
	v_mul_lo_u32 v7, v4, s82                                   // 00000000B774: D2850007 0000A504
	v_add_u32_e32 v83, v6, v7                                  // 00000000B77C: 68A60F06
	v_readlane_b32 s82, v3, 32                                 // 00000000B780: D2890052 00014103
	s_lshr_b32 s61, s82, 24                                    // 00000000B788: 8F3D9852
	s_and_b32 s82, s82, 0xffffff                               // 00000000B78C: 8652FF52 00FFFFFF
	s_mul_i32 s82, s82, s71                                    // 00000000B794: 92524752
	s_mul_i32 s61, s60, s61                                    // 00000000B798: 923D3D3C
	s_add_u32 s82, s82, s61                                    // 00000000B79C: 80523D52
	v_mul_lo_u32 v6, v5, s82                                   // 00000000B7A0: D2850006 0000A505
	v_readlane_b32 s82, v3, 33                                 // 00000000B7A8: D2890052 00014303
	s_lshr_b32 s61, s82, 24                                    // 00000000B7B0: 8F3D9852
	s_and_b32 s82, s82, 0xffffff                               // 00000000B7B4: 8652FF52 00FFFFFF
	s_mul_i32 s82, s82, s71                                    // 00000000B7BC: 92524752
	s_mul_i32 s61, s60, s61                                    // 00000000B7C0: 923D3D3C
	s_add_u32 s82, s82, s61                                    // 00000000B7C4: 80523D52
	v_mul_lo_u32 v7, v4, s82                                   // 00000000B7C8: D2850007 0000A504
	v_add_u32_e32 v84, v6, v7                                  // 00000000B7D0: 68A80F06
	v_readlane_b32 s82, v3, 34                                 // 00000000B7D4: D2890052 00014503
	s_lshr_b32 s61, s82, 24                                    // 00000000B7DC: 8F3D9852
	s_and_b32 s82, s82, 0xffffff                               // 00000000B7E0: 8652FF52 00FFFFFF
	s_mul_i32 s82, s82, s71                                    // 00000000B7E8: 92524752
	s_mul_i32 s61, s60, s61                                    // 00000000B7EC: 923D3D3C
	s_add_u32 s82, s82, s61                                    // 00000000B7F0: 80523D52
	v_mul_lo_u32 v6, v5, s82                                   // 00000000B7F4: D2850006 0000A505
	v_readlane_b32 s82, v3, 35                                 // 00000000B7FC: D2890052 00014703
	s_lshr_b32 s61, s82, 24                                    // 00000000B804: 8F3D9852
	s_and_b32 s82, s82, 0xffffff                               // 00000000B808: 8652FF52 00FFFFFF
	s_mul_i32 s82, s82, s71                                    // 00000000B810: 92524752
	s_mul_i32 s61, s60, s61                                    // 00000000B814: 923D3D3C
	s_add_u32 s82, s82, s61                                    // 00000000B818: 80523D52
	v_mul_lo_u32 v7, v4, s82                                   // 00000000B81C: D2850007 0000A504
	v_add_u32_e32 v85, v6, v7                                  // 00000000B824: 68AA0F06
	v_readlane_b32 s82, v3, 36                                 // 00000000B828: D2890052 00014903
	s_lshr_b32 s61, s82, 24                                    // 00000000B830: 8F3D9852
	s_and_b32 s82, s82, 0xffffff                               // 00000000B834: 8652FF52 00FFFFFF
	s_mul_i32 s82, s82, s71                                    // 00000000B83C: 92524752
	s_mul_i32 s61, s60, s61                                    // 00000000B840: 923D3D3C
	s_add_u32 s82, s82, s61                                    // 00000000B844: 80523D52
	v_mul_lo_u32 v6, v5, s82                                   // 00000000B848: D2850006 0000A505
	v_readlane_b32 s82, v3, 37                                 // 00000000B850: D2890052 00014B03
	s_lshr_b32 s61, s82, 24                                    // 00000000B858: 8F3D9852
	s_and_b32 s82, s82, 0xffffff                               // 00000000B85C: 8652FF52 00FFFFFF
	s_mul_i32 s82, s82, s71                                    // 00000000B864: 92524752
	s_mul_i32 s61, s60, s61                                    // 00000000B868: 923D3D3C
	s_add_u32 s82, s82, s61                                    // 00000000B86C: 80523D52
	v_mul_lo_u32 v7, v4, s82                                   // 00000000B870: D2850007 0000A504
	v_add_u32_e32 v86, v6, v7                                  // 00000000B878: 68AC0F06
	v_readlane_b32 s82, v3, 38                                 // 00000000B87C: D2890052 00014D03
	s_lshr_b32 s61, s82, 24                                    // 00000000B884: 8F3D9852
	s_and_b32 s82, s82, 0xffffff                               // 00000000B888: 8652FF52 00FFFFFF
	s_mul_i32 s82, s82, s71                                    // 00000000B890: 92524752
	s_mul_i32 s61, s60, s61                                    // 00000000B894: 923D3D3C
	s_add_u32 s82, s82, s61                                    // 00000000B898: 80523D52
	v_mul_lo_u32 v6, v5, s82                                   // 00000000B89C: D2850006 0000A505
	v_readlane_b32 s82, v3, 39                                 // 00000000B8A4: D2890052 00014F03
	s_lshr_b32 s61, s82, 24                                    // 00000000B8AC: 8F3D9852
	s_and_b32 s82, s82, 0xffffff                               // 00000000B8B0: 8652FF52 00FFFFFF
	s_mul_i32 s82, s82, s71                                    // 00000000B8B8: 92524752
	s_mul_i32 s61, s60, s61                                    // 00000000B8BC: 923D3D3C
	s_add_u32 s82, s82, s61                                    // 00000000B8C0: 80523D52
	v_mul_lo_u32 v7, v4, s82                                   // 00000000B8C4: D2850007 0000A504
	v_add_u32_e32 v87, v6, v7                                  // 00000000B8CC: 68AE0F06
	v_and_b32_e32 v4, 31, v0                                   // 00000000B8D0: 2608009F
	v_lshrrev_b32_e32 v4, 1, v4                                // 00000000B8D4: 20080881
	s_cmp_eq_u32 s88, 0                                        // 00000000B8D8: BF068058
	s_cselect_b32 s61, 2, 4                                    // 00000000B8DC: 853D8482
	v_mul_lo_u32 v4, v4, s61                                   // 00000000B8E0: D2850004 00007B04
	v_and_b32_e64 v5, v0, 1                                    // 00000000B8E8: D1130005 00010300
	v_add_u32_e32 v4, v4, v5                                   // 00000000B8F0: 68080B04
	v_lshlrev_b32_e32 v4, 2, v4                                // 00000000B8F4: 24080882
	v_add_u32_e32 v68, v68, v4                                 // 00000000B8F8: 68880944
	v_add_u32_e32 v69, v69, v4                                 // 00000000B8FC: 688A0945
	v_add_u32_e32 v70, v70, v4                                 // 00000000B900: 688C0946
	v_add_u32_e32 v71, v71, v4                                 // 00000000B904: 688E0947
	v_add_u32_e32 v72, v72, v4                                 // 00000000B908: 68900948
	v_add_u32_e32 v73, v73, v4                                 // 00000000B90C: 68920949
	v_add_u32_e32 v74, v74, v4                                 // 00000000B910: 6894094A
	v_add_u32_e32 v75, v75, v4                                 // 00000000B914: 6896094B
	v_add_u32_e32 v76, v76, v4                                 // 00000000B918: 6898094C
	v_add_u32_e32 v77, v77, v4                                 // 00000000B91C: 689A094D
	v_add_u32_e32 v78, v78, v4                                 // 00000000B920: 689C094E
	v_add_u32_e32 v79, v79, v4                                 // 00000000B924: 689E094F
	v_add_u32_e32 v80, v80, v4                                 // 00000000B928: 68A00950
	v_add_u32_e32 v81, v81, v4                                 // 00000000B92C: 68A20951
	v_add_u32_e32 v82, v82, v4                                 // 00000000B930: 68A40952
	v_add_u32_e32 v83, v83, v4                                 // 00000000B934: 68A60953
	v_add_u32_e32 v84, v84, v4                                 // 00000000B938: 68A80954
	v_add_u32_e32 v85, v85, v4                                 // 00000000B93C: 68AA0955
	v_add_u32_e32 v86, v86, v4                                 // 00000000B940: 68AC0956
	v_add_u32_e32 v87, v87, v4                                 // 00000000B944: 68AE0957
	s_waitcnt lgkmcnt(0)                                       // 00000000B948: BF8CC07F
	s_barrier                                                  // 00000000B94C: BF8A0000
	ds_read_b32 v92, v21                                       // 00000000B950: D86C0000 5C000015
	ds_read_b32 v93, v21 offset:64                             // 00000000B958: D86C0040 5D000015
	ds_read_b32 v96, v21 offset:2176                           // 00000000B960: D86C0880 60000015
	ds_read_b32 v97, v21 offset:2240                           // 00000000B968: D86C08C0 61000015
	ds_read_b32 v100, v21 offset:4352                          // 00000000B970: D86C1100 64000015
	ds_read_b32 v101, v21 offset:4416                          // 00000000B978: D86C1140 65000015
	ds_read_b32 v104, v21 offset:6528                          // 00000000B980: D86C1980 68000015
	ds_read_b32 v105, v21 offset:6592                          // 00000000B988: D86C19C0 69000015
	ds_read_b32 v108, v21 offset:8704                          // 00000000B990: D86C2200 6C000015
	ds_read_b32 v109, v21 offset:8768                          // 00000000B998: D86C2240 6D000015
	ds_read_b32 v112, v21 offset:10880                         // 00000000B9A0: D86C2A80 70000015
	ds_read_b32 v113, v21 offset:10944                         // 00000000B9A8: D86C2AC0 71000015
	ds_read_b32 v116, v21 offset:13056                         // 00000000B9B0: D86C3300 74000015
	ds_read_b32 v117, v21 offset:13120                         // 00000000B9B8: D86C3340 75000015
	ds_read_b32 v120, v21 offset:15232                         // 00000000B9C0: D86C3B80 78000015
	ds_read_b32 v121, v21 offset:15296                         // 00000000B9C8: D86C3BC0 79000015
	ds_read_b32 v124, v21 offset:17408                         // 00000000B9D0: D86C4400 7C000015
	ds_read_b32 v125, v21 offset:17472                         // 00000000B9D8: D86C4440 7D000015
	ds_read_b32 v128, v21 offset:19584                         // 00000000B9E0: D86C4C80 80000015
	ds_read_b32 v129, v21 offset:19648                         // 00000000B9E8: D86C4CC0 81000015
	s_waitcnt lgkmcnt(0)                                       // 00000000B9F0: BF8CC07F
	s_mov_b32 s36, -1                                          // 00000000B9F4: BEA400C1
	s_mov_b32 s37, -1                                          // 00000000B9F8: BEA500C1
	v_mov_b32_e32 v7, 0                                        // 00000000B9FC: 7E0E0280
	s_mov_b64 exec, s[36:37]                                   // 00000000BA00: BEFE0124
	v_mov_b32_e32 v6, v68                                      // 00000000BA04: 7E0C0344
	s_mov_b64 s[60:61], 0                                      // 00000000BA08: BEBC0180
	v_readlane_b32 s82, v3, 0                                  // 00000000BA0C: D2890052 00010103
	s_and_b32 s82, s82, 0xffffff                               // 00000000BA14: 8652FF52 00FFFFFF
	s_cmp_lt_u32 s82, s66                                      // 00000000BA1C: BF0A4252
	s_cselect_b32 s20, s36, s60                                // 00000000BA20: 85143C24
	v_readlane_b32 s82, v3, 1                                  // 00000000BA24: D2890052 00010303
	s_and_b32 s82, s82, 0xffffff                               // 00000000BA2C: 8652FF52 00FFFFFF
	s_cmp_lt_u32 s82, s66                                      // 00000000BA34: BF0A4252
	s_cselect_b32 s21, s36, s60                                // 00000000BA38: 85153C24
	s_mov_b64 exec, s[20:21]                                   // 00000000BA3C: BEFE0114
	global_atomic_add_f32 v6, v92, s[8:9]                      // 00000000BA40: DD348000 00085C06
	s_mov_b64 exec, s[36:37]                                   // 00000000BA48: BEFE0124
	v_mov_b32_e32 v6, v69                                      // 00000000BA4C: 7E0C0345
	s_mov_b64 s[60:61], 0                                      // 00000000BA50: BEBC0180
	v_readlane_b32 s82, v3, 2                                  // 00000000BA54: D2890052 00010503
	s_and_b32 s82, s82, 0xffffff                               // 00000000BA5C: 8652FF52 00FFFFFF
	s_cmp_lt_u32 s82, s66                                      // 00000000BA64: BF0A4252
	s_cselect_b32 s20, s36, s60                                // 00000000BA68: 85143C24
	v_readlane_b32 s82, v3, 3                                  // 00000000BA6C: D2890052 00010703
	s_and_b32 s82, s82, 0xffffff                               // 00000000BA74: 8652FF52 00FFFFFF
	s_cmp_lt_u32 s82, s66                                      // 00000000BA7C: BF0A4252
	s_cselect_b32 s21, s36, s60                                // 00000000BA80: 85153C24
	s_mov_b64 exec, s[20:21]                                   // 00000000BA84: BEFE0114
	global_atomic_add_f32 v6, v93, s[8:9]                      // 00000000BA88: DD348000 00085D06
	s_mov_b64 exec, s[36:37]                                   // 00000000BA90: BEFE0124
	v_mov_b32_e32 v6, v70                                      // 00000000BA94: 7E0C0346
	s_mov_b64 s[60:61], 0                                      // 00000000BA98: BEBC0180
	v_readlane_b32 s82, v3, 4                                  // 00000000BA9C: D2890052 00010903
	s_and_b32 s82, s82, 0xffffff                               // 00000000BAA4: 8652FF52 00FFFFFF
	s_cmp_lt_u32 s82, s66                                      // 00000000BAAC: BF0A4252
	s_cselect_b32 s20, s36, s60                                // 00000000BAB0: 85143C24
	v_readlane_b32 s82, v3, 5                                  // 00000000BAB4: D2890052 00010B03
	s_and_b32 s82, s82, 0xffffff                               // 00000000BABC: 8652FF52 00FFFFFF
	s_cmp_lt_u32 s82, s66                                      // 00000000BAC4: BF0A4252
	s_cselect_b32 s21, s36, s60                                // 00000000BAC8: 85153C24
	s_mov_b64 exec, s[20:21]                                   // 00000000BACC: BEFE0114
	global_atomic_add_f32 v6, v96, s[8:9]                      // 00000000BAD0: DD348000 00086006
	s_mov_b64 exec, s[36:37]                                   // 00000000BAD8: BEFE0124
	v_mov_b32_e32 v6, v71                                      // 00000000BADC: 7E0C0347
	s_mov_b64 s[60:61], 0                                      // 00000000BAE0: BEBC0180
	v_readlane_b32 s82, v3, 6                                  // 00000000BAE4: D2890052 00010D03
	s_and_b32 s82, s82, 0xffffff                               // 00000000BAEC: 8652FF52 00FFFFFF
	s_cmp_lt_u32 s82, s66                                      // 00000000BAF4: BF0A4252
	s_cselect_b32 s20, s36, s60                                // 00000000BAF8: 85143C24
	v_readlane_b32 s82, v3, 7                                  // 00000000BAFC: D2890052 00010F03
	s_and_b32 s82, s82, 0xffffff                               // 00000000BB04: 8652FF52 00FFFFFF
	s_cmp_lt_u32 s82, s66                                      // 00000000BB0C: BF0A4252
	s_cselect_b32 s21, s36, s60                                // 00000000BB10: 85153C24
	s_mov_b64 exec, s[20:21]                                   // 00000000BB14: BEFE0114
	global_atomic_add_f32 v6, v97, s[8:9]                      // 00000000BB18: DD348000 00086106
	s_mov_b64 exec, s[36:37]                                   // 00000000BB20: BEFE0124
	v_mov_b32_e32 v6, v72                                      // 00000000BB24: 7E0C0348
	s_mov_b64 s[60:61], 0                                      // 00000000BB28: BEBC0180
	v_readlane_b32 s82, v3, 8                                  // 00000000BB2C: D2890052 00011103
	s_and_b32 s82, s82, 0xffffff                               // 00000000BB34: 8652FF52 00FFFFFF
	s_cmp_lt_u32 s82, s66                                      // 00000000BB3C: BF0A4252
	s_cselect_b32 s20, s36, s60                                // 00000000BB40: 85143C24
	v_readlane_b32 s82, v3, 9                                  // 00000000BB44: D2890052 00011303
	s_and_b32 s82, s82, 0xffffff                               // 00000000BB4C: 8652FF52 00FFFFFF
	s_cmp_lt_u32 s82, s66                                      // 00000000BB54: BF0A4252
	s_cselect_b32 s21, s36, s60                                // 00000000BB58: 85153C24
	s_mov_b64 exec, s[20:21]                                   // 00000000BB5C: BEFE0114
	global_atomic_add_f32 v6, v100, s[8:9]                     // 00000000BB60: DD348000 00086406
	s_mov_b64 exec, s[36:37]                                   // 00000000BB68: BEFE0124
	v_mov_b32_e32 v6, v73                                      // 00000000BB6C: 7E0C0349
	s_mov_b64 s[60:61], 0                                      // 00000000BB70: BEBC0180
	v_readlane_b32 s82, v3, 10                                 // 00000000BB74: D2890052 00011503
	s_and_b32 s82, s82, 0xffffff                               // 00000000BB7C: 8652FF52 00FFFFFF
	s_cmp_lt_u32 s82, s66                                      // 00000000BB84: BF0A4252
	s_cselect_b32 s20, s36, s60                                // 00000000BB88: 85143C24
	v_readlane_b32 s82, v3, 11                                 // 00000000BB8C: D2890052 00011703
	s_and_b32 s82, s82, 0xffffff                               // 00000000BB94: 8652FF52 00FFFFFF
	s_cmp_lt_u32 s82, s66                                      // 00000000BB9C: BF0A4252
	s_cselect_b32 s21, s36, s60                                // 00000000BBA0: 85153C24
	s_mov_b64 exec, s[20:21]                                   // 00000000BBA4: BEFE0114
	global_atomic_add_f32 v6, v101, s[8:9]                     // 00000000BBA8: DD348000 00086506
	s_mov_b64 exec, s[36:37]                                   // 00000000BBB0: BEFE0124
	v_mov_b32_e32 v6, v74                                      // 00000000BBB4: 7E0C034A
	s_mov_b64 s[60:61], 0                                      // 00000000BBB8: BEBC0180
	v_readlane_b32 s82, v3, 12                                 // 00000000BBBC: D2890052 00011903
	s_and_b32 s82, s82, 0xffffff                               // 00000000BBC4: 8652FF52 00FFFFFF
	s_cmp_lt_u32 s82, s66                                      // 00000000BBCC: BF0A4252
	s_cselect_b32 s20, s36, s60                                // 00000000BBD0: 85143C24
	v_readlane_b32 s82, v3, 13                                 // 00000000BBD4: D2890052 00011B03
	s_and_b32 s82, s82, 0xffffff                               // 00000000BBDC: 8652FF52 00FFFFFF
	s_cmp_lt_u32 s82, s66                                      // 00000000BBE4: BF0A4252
	s_cselect_b32 s21, s36, s60                                // 00000000BBE8: 85153C24
	s_mov_b64 exec, s[20:21]                                   // 00000000BBEC: BEFE0114
	global_atomic_add_f32 v6, v104, s[8:9]                     // 00000000BBF0: DD348000 00086806
	s_mov_b64 exec, s[36:37]                                   // 00000000BBF8: BEFE0124
	v_mov_b32_e32 v6, v75                                      // 00000000BBFC: 7E0C034B
	s_mov_b64 s[60:61], 0                                      // 00000000BC00: BEBC0180
	v_readlane_b32 s82, v3, 14                                 // 00000000BC04: D2890052 00011D03
	s_and_b32 s82, s82, 0xffffff                               // 00000000BC0C: 8652FF52 00FFFFFF
	s_cmp_lt_u32 s82, s66                                      // 00000000BC14: BF0A4252
	s_cselect_b32 s20, s36, s60                                // 00000000BC18: 85143C24
	v_readlane_b32 s82, v3, 15                                 // 00000000BC1C: D2890052 00011F03
	s_and_b32 s82, s82, 0xffffff                               // 00000000BC24: 8652FF52 00FFFFFF
	s_cmp_lt_u32 s82, s66                                      // 00000000BC2C: BF0A4252
	s_cselect_b32 s21, s36, s60                                // 00000000BC30: 85153C24
	s_mov_b64 exec, s[20:21]                                   // 00000000BC34: BEFE0114
	global_atomic_add_f32 v6, v105, s[8:9]                     // 00000000BC38: DD348000 00086906
	s_mov_b64 exec, s[36:37]                                   // 00000000BC40: BEFE0124
	v_mov_b32_e32 v6, v76                                      // 00000000BC44: 7E0C034C
	s_mov_b64 s[60:61], 0                                      // 00000000BC48: BEBC0180
	v_readlane_b32 s82, v3, 16                                 // 00000000BC4C: D2890052 00012103
	s_and_b32 s82, s82, 0xffffff                               // 00000000BC54: 8652FF52 00FFFFFF
	s_cmp_lt_u32 s82, s66                                      // 00000000BC5C: BF0A4252
	s_cselect_b32 s20, s36, s60                                // 00000000BC60: 85143C24
	v_readlane_b32 s82, v3, 17                                 // 00000000BC64: D2890052 00012303
	s_and_b32 s82, s82, 0xffffff                               // 00000000BC6C: 8652FF52 00FFFFFF
	s_cmp_lt_u32 s82, s66                                      // 00000000BC74: BF0A4252
	s_cselect_b32 s21, s36, s60                                // 00000000BC78: 85153C24
	s_mov_b64 exec, s[20:21]                                   // 00000000BC7C: BEFE0114
	global_atomic_add_f32 v6, v108, s[8:9]                     // 00000000BC80: DD348000 00086C06
	s_mov_b64 exec, s[36:37]                                   // 00000000BC88: BEFE0124
	v_mov_b32_e32 v6, v77                                      // 00000000BC8C: 7E0C034D
	s_mov_b64 s[60:61], 0                                      // 00000000BC90: BEBC0180
	v_readlane_b32 s82, v3, 18                                 // 00000000BC94: D2890052 00012503
	s_and_b32 s82, s82, 0xffffff                               // 00000000BC9C: 8652FF52 00FFFFFF
	s_cmp_lt_u32 s82, s66                                      // 00000000BCA4: BF0A4252
	s_cselect_b32 s20, s36, s60                                // 00000000BCA8: 85143C24
	v_readlane_b32 s82, v3, 19                                 // 00000000BCAC: D2890052 00012703
	s_and_b32 s82, s82, 0xffffff                               // 00000000BCB4: 8652FF52 00FFFFFF
	s_cmp_lt_u32 s82, s66                                      // 00000000BCBC: BF0A4252
	s_cselect_b32 s21, s36, s60                                // 00000000BCC0: 85153C24
	s_mov_b64 exec, s[20:21]                                   // 00000000BCC4: BEFE0114
	global_atomic_add_f32 v6, v109, s[8:9]                     // 00000000BCC8: DD348000 00086D06
	s_mov_b64 exec, s[36:37]                                   // 00000000BCD0: BEFE0124
	v_mov_b32_e32 v6, v78                                      // 00000000BCD4: 7E0C034E
	s_mov_b64 s[60:61], 0                                      // 00000000BCD8: BEBC0180
	v_readlane_b32 s82, v3, 20                                 // 00000000BCDC: D2890052 00012903
	s_and_b32 s82, s82, 0xffffff                               // 00000000BCE4: 8652FF52 00FFFFFF
	s_cmp_lt_u32 s82, s66                                      // 00000000BCEC: BF0A4252
	s_cselect_b32 s20, s36, s60                                // 00000000BCF0: 85143C24
	v_readlane_b32 s82, v3, 21                                 // 00000000BCF4: D2890052 00012B03
	s_and_b32 s82, s82, 0xffffff                               // 00000000BCFC: 8652FF52 00FFFFFF
	s_cmp_lt_u32 s82, s66                                      // 00000000BD04: BF0A4252
	s_cselect_b32 s21, s36, s60                                // 00000000BD08: 85153C24
	s_mov_b64 exec, s[20:21]                                   // 00000000BD0C: BEFE0114
	global_atomic_add_f32 v6, v112, s[8:9]                     // 00000000BD10: DD348000 00087006
	s_mov_b64 exec, s[36:37]                                   // 00000000BD18: BEFE0124
	v_mov_b32_e32 v6, v79                                      // 00000000BD1C: 7E0C034F
	s_mov_b64 s[60:61], 0                                      // 00000000BD20: BEBC0180
	v_readlane_b32 s82, v3, 22                                 // 00000000BD24: D2890052 00012D03
	s_and_b32 s82, s82, 0xffffff                               // 00000000BD2C: 8652FF52 00FFFFFF
	s_cmp_lt_u32 s82, s66                                      // 00000000BD34: BF0A4252
	s_cselect_b32 s20, s36, s60                                // 00000000BD38: 85143C24
	v_readlane_b32 s82, v3, 23                                 // 00000000BD3C: D2890052 00012F03
	s_and_b32 s82, s82, 0xffffff                               // 00000000BD44: 8652FF52 00FFFFFF
	s_cmp_lt_u32 s82, s66                                      // 00000000BD4C: BF0A4252
	s_cselect_b32 s21, s36, s60                                // 00000000BD50: 85153C24
	s_mov_b64 exec, s[20:21]                                   // 00000000BD54: BEFE0114
	global_atomic_add_f32 v6, v113, s[8:9]                     // 00000000BD58: DD348000 00087106
	s_mov_b64 exec, s[36:37]                                   // 00000000BD60: BEFE0124
	v_mov_b32_e32 v6, v80                                      // 00000000BD64: 7E0C0350
	s_mov_b64 s[60:61], 0                                      // 00000000BD68: BEBC0180
	v_readlane_b32 s82, v3, 24                                 // 00000000BD6C: D2890052 00013103
	s_and_b32 s82, s82, 0xffffff                               // 00000000BD74: 8652FF52 00FFFFFF
	s_cmp_lt_u32 s82, s66                                      // 00000000BD7C: BF0A4252
	s_cselect_b32 s20, s36, s60                                // 00000000BD80: 85143C24
	v_readlane_b32 s82, v3, 25                                 // 00000000BD84: D2890052 00013303
	s_and_b32 s82, s82, 0xffffff                               // 00000000BD8C: 8652FF52 00FFFFFF
	s_cmp_lt_u32 s82, s66                                      // 00000000BD94: BF0A4252
	s_cselect_b32 s21, s36, s60                                // 00000000BD98: 85153C24
	s_mov_b64 exec, s[20:21]                                   // 00000000BD9C: BEFE0114
	global_atomic_add_f32 v6, v116, s[8:9]                     // 00000000BDA0: DD348000 00087406
	s_mov_b64 exec, s[36:37]                                   // 00000000BDA8: BEFE0124
	v_mov_b32_e32 v6, v81                                      // 00000000BDAC: 7E0C0351
	s_mov_b64 s[60:61], 0                                      // 00000000BDB0: BEBC0180
	v_readlane_b32 s82, v3, 26                                 // 00000000BDB4: D2890052 00013503
	s_and_b32 s82, s82, 0xffffff                               // 00000000BDBC: 8652FF52 00FFFFFF
	s_cmp_lt_u32 s82, s66                                      // 00000000BDC4: BF0A4252
	s_cselect_b32 s20, s36, s60                                // 00000000BDC8: 85143C24
	v_readlane_b32 s82, v3, 27                                 // 00000000BDCC: D2890052 00013703
	s_and_b32 s82, s82, 0xffffff                               // 00000000BDD4: 8652FF52 00FFFFFF
	s_cmp_lt_u32 s82, s66                                      // 00000000BDDC: BF0A4252
	s_cselect_b32 s21, s36, s60                                // 00000000BDE0: 85153C24
	s_mov_b64 exec, s[20:21]                                   // 00000000BDE4: BEFE0114
	global_atomic_add_f32 v6, v117, s[8:9]                     // 00000000BDE8: DD348000 00087506
	s_mov_b64 exec, s[36:37]                                   // 00000000BDF0: BEFE0124
	v_mov_b32_e32 v6, v82                                      // 00000000BDF4: 7E0C0352
	s_mov_b64 s[60:61], 0                                      // 00000000BDF8: BEBC0180
	v_readlane_b32 s82, v3, 28                                 // 00000000BDFC: D2890052 00013903
	s_and_b32 s82, s82, 0xffffff                               // 00000000BE04: 8652FF52 00FFFFFF
	s_cmp_lt_u32 s82, s66                                      // 00000000BE0C: BF0A4252
	s_cselect_b32 s20, s36, s60                                // 00000000BE10: 85143C24
	v_readlane_b32 s82, v3, 29                                 // 00000000BE14: D2890052 00013B03
	s_and_b32 s82, s82, 0xffffff                               // 00000000BE1C: 8652FF52 00FFFFFF
	s_cmp_lt_u32 s82, s66                                      // 00000000BE24: BF0A4252
	s_cselect_b32 s21, s36, s60                                // 00000000BE28: 85153C24
	s_mov_b64 exec, s[20:21]                                   // 00000000BE2C: BEFE0114
	global_atomic_add_f32 v6, v120, s[8:9]                     // 00000000BE30: DD348000 00087806
	s_mov_b64 exec, s[36:37]                                   // 00000000BE38: BEFE0124
	v_mov_b32_e32 v6, v83                                      // 00000000BE3C: 7E0C0353
	s_mov_b64 s[60:61], 0                                      // 00000000BE40: BEBC0180
	v_readlane_b32 s82, v3, 30                                 // 00000000BE44: D2890052 00013D03
	s_and_b32 s82, s82, 0xffffff                               // 00000000BE4C: 8652FF52 00FFFFFF
	s_cmp_lt_u32 s82, s66                                      // 00000000BE54: BF0A4252
	s_cselect_b32 s20, s36, s60                                // 00000000BE58: 85143C24
	v_readlane_b32 s82, v3, 31                                 // 00000000BE5C: D2890052 00013F03
	s_and_b32 s82, s82, 0xffffff                               // 00000000BE64: 8652FF52 00FFFFFF
	s_cmp_lt_u32 s82, s66                                      // 00000000BE6C: BF0A4252
	s_cselect_b32 s21, s36, s60                                // 00000000BE70: 85153C24
	s_mov_b64 exec, s[20:21]                                   // 00000000BE74: BEFE0114
	global_atomic_add_f32 v6, v121, s[8:9]                     // 00000000BE78: DD348000 00087906
	s_mov_b64 exec, s[36:37]                                   // 00000000BE80: BEFE0124
	v_mov_b32_e32 v6, v84                                      // 00000000BE84: 7E0C0354
	s_mov_b64 s[60:61], 0                                      // 00000000BE88: BEBC0180
	v_readlane_b32 s82, v3, 32                                 // 00000000BE8C: D2890052 00014103
	s_and_b32 s82, s82, 0xffffff                               // 00000000BE94: 8652FF52 00FFFFFF
	s_cmp_lt_u32 s82, s66                                      // 00000000BE9C: BF0A4252
	s_cselect_b32 s20, s36, s60                                // 00000000BEA0: 85143C24
	v_readlane_b32 s82, v3, 33                                 // 00000000BEA4: D2890052 00014303
	s_and_b32 s82, s82, 0xffffff                               // 00000000BEAC: 8652FF52 00FFFFFF
	s_cmp_lt_u32 s82, s66                                      // 00000000BEB4: BF0A4252
	s_cselect_b32 s21, s36, s60                                // 00000000BEB8: 85153C24
	s_mov_b64 exec, s[20:21]                                   // 00000000BEBC: BEFE0114
	global_atomic_add_f32 v6, v124, s[8:9]                     // 00000000BEC0: DD348000 00087C06
	s_mov_b64 exec, s[36:37]                                   // 00000000BEC8: BEFE0124
	v_mov_b32_e32 v6, v85                                      // 00000000BECC: 7E0C0355
	s_mov_b64 s[60:61], 0                                      // 00000000BED0: BEBC0180
	v_readlane_b32 s82, v3, 34                                 // 00000000BED4: D2890052 00014503
	s_and_b32 s82, s82, 0xffffff                               // 00000000BEDC: 8652FF52 00FFFFFF
	s_cmp_lt_u32 s82, s66                                      // 00000000BEE4: BF0A4252
	s_cselect_b32 s20, s36, s60                                // 00000000BEE8: 85143C24
	v_readlane_b32 s82, v3, 35                                 // 00000000BEEC: D2890052 00014703
	s_and_b32 s82, s82, 0xffffff                               // 00000000BEF4: 8652FF52 00FFFFFF
	s_cmp_lt_u32 s82, s66                                      // 00000000BEFC: BF0A4252
	s_cselect_b32 s21, s36, s60                                // 00000000BF00: 85153C24
	s_mov_b64 exec, s[20:21]                                   // 00000000BF04: BEFE0114
	global_atomic_add_f32 v6, v125, s[8:9]                     // 00000000BF08: DD348000 00087D06
	s_mov_b64 exec, s[36:37]                                   // 00000000BF10: BEFE0124
	v_mov_b32_e32 v6, v86                                      // 00000000BF14: 7E0C0356
	s_mov_b64 s[60:61], 0                                      // 00000000BF18: BEBC0180
	v_readlane_b32 s82, v3, 36                                 // 00000000BF1C: D2890052 00014903
	s_and_b32 s82, s82, 0xffffff                               // 00000000BF24: 8652FF52 00FFFFFF
	s_cmp_lt_u32 s82, s66                                      // 00000000BF2C: BF0A4252
	s_cselect_b32 s20, s36, s60                                // 00000000BF30: 85143C24
	v_readlane_b32 s82, v3, 37                                 // 00000000BF34: D2890052 00014B03
	s_and_b32 s82, s82, 0xffffff                               // 00000000BF3C: 8652FF52 00FFFFFF
	s_cmp_lt_u32 s82, s66                                      // 00000000BF44: BF0A4252
	s_cselect_b32 s21, s36, s60                                // 00000000BF48: 85153C24
	s_mov_b64 exec, s[20:21]                                   // 00000000BF4C: BEFE0114
	global_atomic_add_f32 v6, v128, s[8:9]                     // 00000000BF50: DD348000 00088006
	s_mov_b64 exec, s[36:37]                                   // 00000000BF58: BEFE0124
	v_mov_b32_e32 v6, v87                                      // 00000000BF5C: 7E0C0357
	s_mov_b64 s[60:61], 0                                      // 00000000BF60: BEBC0180
	v_readlane_b32 s82, v3, 38                                 // 00000000BF64: D2890052 00014D03
	s_and_b32 s82, s82, 0xffffff                               // 00000000BF6C: 8652FF52 00FFFFFF
	s_cmp_lt_u32 s82, s66                                      // 00000000BF74: BF0A4252
	s_cselect_b32 s20, s36, s60                                // 00000000BF78: 85143C24
	v_readlane_b32 s82, v3, 39                                 // 00000000BF7C: D2890052 00014F03
	s_and_b32 s82, s82, 0xffffff                               // 00000000BF84: 8652FF52 00FFFFFF
	s_cmp_lt_u32 s82, s66                                      // 00000000BF8C: BF0A4252
	s_cselect_b32 s21, s36, s60                                // 00000000BF90: 85153C24
	s_mov_b64 exec, s[20:21]                                   // 00000000BF94: BEFE0114
	global_atomic_add_f32 v6, v129, s[8:9]                     // 00000000BF98: DD348000 00088106
	s_mov_b64 exec, s[36:37]                                   // 00000000BFA0: BEFE0124
	ds_write_b64 v20, v[94:95]                                 // 00000000BFA4: D89A0000 00005E14
	ds_write_b64 v20, v[98:99] offset:2176                     // 00000000BFAC: D89A0880 00006214
	ds_write_b64 v20, v[102:103] offset:4352                   // 00000000BFB4: D89A1100 00006614
	ds_write_b64 v20, v[106:107] offset:6528                   // 00000000BFBC: D89A1980 00006A14
	ds_write_b64 v20, v[110:111] offset:8704                   // 00000000BFC4: D89A2200 00006E14
	ds_write_b64 v20, v[114:115] offset:10880                  // 00000000BFCC: D89A2A80 00007214
	ds_write_b64 v20, v[118:119] offset:13056                  // 00000000BFD4: D89A3300 00007614
	ds_write_b64 v20, v[122:123] offset:15232                  // 00000000BFDC: D89A3B80 00007A14
	ds_write_b64 v20, v[126:127] offset:17408                  // 00000000BFE4: D89A4400 00007E14
	ds_write_b64 v20, v[130:131] offset:19584                  // 00000000BFEC: D89A4C80 00008214
	s_waitcnt lgkmcnt(0)                                       // 00000000BFF4: BF8CC07F
	s_barrier                                                  // 00000000BFF8: BF8A0000
	ds_read_b32 v94, v21                                       // 00000000BFFC: D86C0000 5E000015
	ds_read_b32 v95, v21 offset:64                             // 00000000C004: D86C0040 5F000015
	ds_read_b32 v98, v21 offset:2176                           // 00000000C00C: D86C0880 62000015
	ds_read_b32 v99, v21 offset:2240                           // 00000000C014: D86C08C0 63000015
	ds_read_b32 v102, v21 offset:4352                          // 00000000C01C: D86C1100 66000015
	ds_read_b32 v103, v21 offset:4416                          // 00000000C024: D86C1140 67000015
	ds_read_b32 v106, v21 offset:6528                          // 00000000C02C: D86C1980 6A000015
	ds_read_b32 v107, v21 offset:6592                          // 00000000C034: D86C19C0 6B000015
	ds_read_b32 v110, v21 offset:8704                          // 00000000C03C: D86C2200 6E000015
	ds_read_b32 v111, v21 offset:8768                          // 00000000C044: D86C2240 6F000015
	ds_read_b32 v114, v21 offset:10880                         // 00000000C04C: D86C2A80 72000015
	ds_read_b32 v115, v21 offset:10944                         // 00000000C054: D86C2AC0 73000015
	ds_read_b32 v118, v21 offset:13056                         // 00000000C05C: D86C3300 76000015
	ds_read_b32 v119, v21 offset:13120                         // 00000000C064: D86C3340 77000015
	ds_read_b32 v122, v21 offset:15232                         // 00000000C06C: D86C3B80 7A000015
	ds_read_b32 v123, v21 offset:15296                         // 00000000C074: D86C3BC0 7B000015
	ds_read_b32 v126, v21 offset:17408                         // 00000000C07C: D86C4400 7E000015
	ds_read_b32 v127, v21 offset:17472                         // 00000000C084: D86C4440 7F000015
	ds_read_b32 v130, v21 offset:19584                         // 00000000C08C: D86C4C80 82000015
	ds_read_b32 v131, v21 offset:19648                         // 00000000C094: D86C4CC0 83000015
	s_waitcnt lgkmcnt(0)                                       // 00000000C09C: BF8CC07F
	v_mov_b32_e32 v7, 0                                        // 00000000C0A0: 7E0E0280
	s_mov_b64 exec, s[36:37]                                   // 00000000C0A4: BEFE0124
	v_mov_b32_e32 v6, v68                                      // 00000000C0A8: 7E0C0344
	s_mov_b64 s[60:61], 0                                      // 00000000C0AC: BEBC0180
	v_readlane_b32 s82, v3, 0                                  // 00000000C0B0: D2890052 00010103
	s_and_b32 s82, s82, 0xffffff                               // 00000000C0B8: 8652FF52 00FFFFFF
	s_cmp_lt_u32 s82, s66                                      // 00000000C0C0: BF0A4252
	s_cselect_b32 s20, s36, s60                                // 00000000C0C4: 85143C24
	v_readlane_b32 s82, v3, 1                                  // 00000000C0C8: D2890052 00010303
	s_and_b32 s82, s82, 0xffffff                               // 00000000C0D0: 8652FF52 00FFFFFF
	s_cmp_lt_u32 s82, s66                                      // 00000000C0D8: BF0A4252
	s_cselect_b32 s21, s36, s60                                // 00000000C0DC: 85153C24
	s_mov_b64 exec, s[20:21]                                   // 00000000C0E0: BEFE0114
	global_atomic_add_f32 v6, v94, s[8:9] offset:8             // 00000000C0E4: DD348008 00085E06
	s_mov_b64 exec, s[36:37]                                   // 00000000C0EC: BEFE0124
	v_mov_b32_e32 v6, v69                                      // 00000000C0F0: 7E0C0345
	s_mov_b64 s[60:61], 0                                      // 00000000C0F4: BEBC0180
	v_readlane_b32 s82, v3, 2                                  // 00000000C0F8: D2890052 00010503
	s_and_b32 s82, s82, 0xffffff                               // 00000000C100: 8652FF52 00FFFFFF
	s_cmp_lt_u32 s82, s66                                      // 00000000C108: BF0A4252
	s_cselect_b32 s20, s36, s60                                // 00000000C10C: 85143C24
	v_readlane_b32 s82, v3, 3                                  // 00000000C110: D2890052 00010703
	s_and_b32 s82, s82, 0xffffff                               // 00000000C118: 8652FF52 00FFFFFF
	s_cmp_lt_u32 s82, s66                                      // 00000000C120: BF0A4252
	s_cselect_b32 s21, s36, s60                                // 00000000C124: 85153C24
	s_mov_b64 exec, s[20:21]                                   // 00000000C128: BEFE0114
	global_atomic_add_f32 v6, v95, s[8:9] offset:8             // 00000000C12C: DD348008 00085F06
	s_mov_b64 exec, s[36:37]                                   // 00000000C134: BEFE0124
	v_mov_b32_e32 v6, v70                                      // 00000000C138: 7E0C0346
	s_mov_b64 s[60:61], 0                                      // 00000000C13C: BEBC0180
	v_readlane_b32 s82, v3, 4                                  // 00000000C140: D2890052 00010903
	s_and_b32 s82, s82, 0xffffff                               // 00000000C148: 8652FF52 00FFFFFF
	s_cmp_lt_u32 s82, s66                                      // 00000000C150: BF0A4252
	s_cselect_b32 s20, s36, s60                                // 00000000C154: 85143C24
	v_readlane_b32 s82, v3, 5                                  // 00000000C158: D2890052 00010B03
	s_and_b32 s82, s82, 0xffffff                               // 00000000C160: 8652FF52 00FFFFFF
	s_cmp_lt_u32 s82, s66                                      // 00000000C168: BF0A4252
	s_cselect_b32 s21, s36, s60                                // 00000000C16C: 85153C24
	s_mov_b64 exec, s[20:21]                                   // 00000000C170: BEFE0114
	global_atomic_add_f32 v6, v98, s[8:9] offset:8             // 00000000C174: DD348008 00086206
	s_mov_b64 exec, s[36:37]                                   // 00000000C17C: BEFE0124
	v_mov_b32_e32 v6, v71                                      // 00000000C180: 7E0C0347
	s_mov_b64 s[60:61], 0                                      // 00000000C184: BEBC0180
	v_readlane_b32 s82, v3, 6                                  // 00000000C188: D2890052 00010D03
	s_and_b32 s82, s82, 0xffffff                               // 00000000C190: 8652FF52 00FFFFFF
	s_cmp_lt_u32 s82, s66                                      // 00000000C198: BF0A4252
	s_cselect_b32 s20, s36, s60                                // 00000000C19C: 85143C24
	v_readlane_b32 s82, v3, 7                                  // 00000000C1A0: D2890052 00010F03
	s_and_b32 s82, s82, 0xffffff                               // 00000000C1A8: 8652FF52 00FFFFFF
	s_cmp_lt_u32 s82, s66                                      // 00000000C1B0: BF0A4252
	s_cselect_b32 s21, s36, s60                                // 00000000C1B4: 85153C24
	s_mov_b64 exec, s[20:21]                                   // 00000000C1B8: BEFE0114
	global_atomic_add_f32 v6, v99, s[8:9] offset:8             // 00000000C1BC: DD348008 00086306
	s_mov_b64 exec, s[36:37]                                   // 00000000C1C4: BEFE0124
	v_mov_b32_e32 v6, v72                                      // 00000000C1C8: 7E0C0348
	s_mov_b64 s[60:61], 0                                      // 00000000C1CC: BEBC0180
	v_readlane_b32 s82, v3, 8                                  // 00000000C1D0: D2890052 00011103
	s_and_b32 s82, s82, 0xffffff                               // 00000000C1D8: 8652FF52 00FFFFFF
	s_cmp_lt_u32 s82, s66                                      // 00000000C1E0: BF0A4252
	s_cselect_b32 s20, s36, s60                                // 00000000C1E4: 85143C24
	v_readlane_b32 s82, v3, 9                                  // 00000000C1E8: D2890052 00011303
	s_and_b32 s82, s82, 0xffffff                               // 00000000C1F0: 8652FF52 00FFFFFF
	s_cmp_lt_u32 s82, s66                                      // 00000000C1F8: BF0A4252
	s_cselect_b32 s21, s36, s60                                // 00000000C1FC: 85153C24
	s_mov_b64 exec, s[20:21]                                   // 00000000C200: BEFE0114
	global_atomic_add_f32 v6, v102, s[8:9] offset:8            // 00000000C204: DD348008 00086606
	s_mov_b64 exec, s[36:37]                                   // 00000000C20C: BEFE0124
	v_mov_b32_e32 v6, v73                                      // 00000000C210: 7E0C0349
	s_mov_b64 s[60:61], 0                                      // 00000000C214: BEBC0180
	v_readlane_b32 s82, v3, 10                                 // 00000000C218: D2890052 00011503
	s_and_b32 s82, s82, 0xffffff                               // 00000000C220: 8652FF52 00FFFFFF
	s_cmp_lt_u32 s82, s66                                      // 00000000C228: BF0A4252
	s_cselect_b32 s20, s36, s60                                // 00000000C22C: 85143C24
	v_readlane_b32 s82, v3, 11                                 // 00000000C230: D2890052 00011703
	s_and_b32 s82, s82, 0xffffff                               // 00000000C238: 8652FF52 00FFFFFF
	s_cmp_lt_u32 s82, s66                                      // 00000000C240: BF0A4252
	s_cselect_b32 s21, s36, s60                                // 00000000C244: 85153C24
	s_mov_b64 exec, s[20:21]                                   // 00000000C248: BEFE0114
	global_atomic_add_f32 v6, v103, s[8:9] offset:8            // 00000000C24C: DD348008 00086706
	s_mov_b64 exec, s[36:37]                                   // 00000000C254: BEFE0124
	v_mov_b32_e32 v6, v74                                      // 00000000C258: 7E0C034A
	s_mov_b64 s[60:61], 0                                      // 00000000C25C: BEBC0180
	v_readlane_b32 s82, v3, 12                                 // 00000000C260: D2890052 00011903
	s_and_b32 s82, s82, 0xffffff                               // 00000000C268: 8652FF52 00FFFFFF
	s_cmp_lt_u32 s82, s66                                      // 00000000C270: BF0A4252
	s_cselect_b32 s20, s36, s60                                // 00000000C274: 85143C24
	v_readlane_b32 s82, v3, 13                                 // 00000000C278: D2890052 00011B03
	s_and_b32 s82, s82, 0xffffff                               // 00000000C280: 8652FF52 00FFFFFF
	s_cmp_lt_u32 s82, s66                                      // 00000000C288: BF0A4252
	s_cselect_b32 s21, s36, s60                                // 00000000C28C: 85153C24
	s_mov_b64 exec, s[20:21]                                   // 00000000C290: BEFE0114
	global_atomic_add_f32 v6, v106, s[8:9] offset:8            // 00000000C294: DD348008 00086A06
	s_mov_b64 exec, s[36:37]                                   // 00000000C29C: BEFE0124
	v_mov_b32_e32 v6, v75                                      // 00000000C2A0: 7E0C034B
	s_mov_b64 s[60:61], 0                                      // 00000000C2A4: BEBC0180
	v_readlane_b32 s82, v3, 14                                 // 00000000C2A8: D2890052 00011D03
	s_and_b32 s82, s82, 0xffffff                               // 00000000C2B0: 8652FF52 00FFFFFF
	s_cmp_lt_u32 s82, s66                                      // 00000000C2B8: BF0A4252
	s_cselect_b32 s20, s36, s60                                // 00000000C2BC: 85143C24
	v_readlane_b32 s82, v3, 15                                 // 00000000C2C0: D2890052 00011F03
	s_and_b32 s82, s82, 0xffffff                               // 00000000C2C8: 8652FF52 00FFFFFF
	s_cmp_lt_u32 s82, s66                                      // 00000000C2D0: BF0A4252
	s_cselect_b32 s21, s36, s60                                // 00000000C2D4: 85153C24
	s_mov_b64 exec, s[20:21]                                   // 00000000C2D8: BEFE0114
	global_atomic_add_f32 v6, v107, s[8:9] offset:8            // 00000000C2DC: DD348008 00086B06
	s_mov_b64 exec, s[36:37]                                   // 00000000C2E4: BEFE0124
	v_mov_b32_e32 v6, v76                                      // 00000000C2E8: 7E0C034C
	s_mov_b64 s[60:61], 0                                      // 00000000C2EC: BEBC0180
	v_readlane_b32 s82, v3, 16                                 // 00000000C2F0: D2890052 00012103
	s_and_b32 s82, s82, 0xffffff                               // 00000000C2F8: 8652FF52 00FFFFFF
	s_cmp_lt_u32 s82, s66                                      // 00000000C300: BF0A4252
	s_cselect_b32 s20, s36, s60                                // 00000000C304: 85143C24
	v_readlane_b32 s82, v3, 17                                 // 00000000C308: D2890052 00012303
	s_and_b32 s82, s82, 0xffffff                               // 00000000C310: 8652FF52 00FFFFFF
	s_cmp_lt_u32 s82, s66                                      // 00000000C318: BF0A4252
	s_cselect_b32 s21, s36, s60                                // 00000000C31C: 85153C24
	s_mov_b64 exec, s[20:21]                                   // 00000000C320: BEFE0114
	global_atomic_add_f32 v6, v110, s[8:9] offset:8            // 00000000C324: DD348008 00086E06
	s_mov_b64 exec, s[36:37]                                   // 00000000C32C: BEFE0124
	v_mov_b32_e32 v6, v77                                      // 00000000C330: 7E0C034D
	s_mov_b64 s[60:61], 0                                      // 00000000C334: BEBC0180
	v_readlane_b32 s82, v3, 18                                 // 00000000C338: D2890052 00012503
	s_and_b32 s82, s82, 0xffffff                               // 00000000C340: 8652FF52 00FFFFFF
	s_cmp_lt_u32 s82, s66                                      // 00000000C348: BF0A4252
	s_cselect_b32 s20, s36, s60                                // 00000000C34C: 85143C24
	v_readlane_b32 s82, v3, 19                                 // 00000000C350: D2890052 00012703
	s_and_b32 s82, s82, 0xffffff                               // 00000000C358: 8652FF52 00FFFFFF
	s_cmp_lt_u32 s82, s66                                      // 00000000C360: BF0A4252
	s_cselect_b32 s21, s36, s60                                // 00000000C364: 85153C24
	s_mov_b64 exec, s[20:21]                                   // 00000000C368: BEFE0114
	global_atomic_add_f32 v6, v111, s[8:9] offset:8            // 00000000C36C: DD348008 00086F06
	s_mov_b64 exec, s[36:37]                                   // 00000000C374: BEFE0124
	v_mov_b32_e32 v6, v78                                      // 00000000C378: 7E0C034E
	s_mov_b64 s[60:61], 0                                      // 00000000C37C: BEBC0180
	v_readlane_b32 s82, v3, 20                                 // 00000000C380: D2890052 00012903
	s_and_b32 s82, s82, 0xffffff                               // 00000000C388: 8652FF52 00FFFFFF
	s_cmp_lt_u32 s82, s66                                      // 00000000C390: BF0A4252
	s_cselect_b32 s20, s36, s60                                // 00000000C394: 85143C24
	v_readlane_b32 s82, v3, 21                                 // 00000000C398: D2890052 00012B03
	s_and_b32 s82, s82, 0xffffff                               // 00000000C3A0: 8652FF52 00FFFFFF
	s_cmp_lt_u32 s82, s66                                      // 00000000C3A8: BF0A4252
	s_cselect_b32 s21, s36, s60                                // 00000000C3AC: 85153C24
	s_mov_b64 exec, s[20:21]                                   // 00000000C3B0: BEFE0114
	global_atomic_add_f32 v6, v114, s[8:9] offset:8            // 00000000C3B4: DD348008 00087206
	s_mov_b64 exec, s[36:37]                                   // 00000000C3BC: BEFE0124
	v_mov_b32_e32 v6, v79                                      // 00000000C3C0: 7E0C034F
	s_mov_b64 s[60:61], 0                                      // 00000000C3C4: BEBC0180
	v_readlane_b32 s82, v3, 22                                 // 00000000C3C8: D2890052 00012D03
	s_and_b32 s82, s82, 0xffffff                               // 00000000C3D0: 8652FF52 00FFFFFF
	s_cmp_lt_u32 s82, s66                                      // 00000000C3D8: BF0A4252
	s_cselect_b32 s20, s36, s60                                // 00000000C3DC: 85143C24
	v_readlane_b32 s82, v3, 23                                 // 00000000C3E0: D2890052 00012F03
	s_and_b32 s82, s82, 0xffffff                               // 00000000C3E8: 8652FF52 00FFFFFF
	s_cmp_lt_u32 s82, s66                                      // 00000000C3F0: BF0A4252
	s_cselect_b32 s21, s36, s60                                // 00000000C3F4: 85153C24
	s_mov_b64 exec, s[20:21]                                   // 00000000C3F8: BEFE0114
	global_atomic_add_f32 v6, v115, s[8:9] offset:8            // 00000000C3FC: DD348008 00087306
	s_mov_b64 exec, s[36:37]                                   // 00000000C404: BEFE0124
	v_mov_b32_e32 v6, v80                                      // 00000000C408: 7E0C0350
	s_mov_b64 s[60:61], 0                                      // 00000000C40C: BEBC0180
	v_readlane_b32 s82, v3, 24                                 // 00000000C410: D2890052 00013103
	s_and_b32 s82, s82, 0xffffff                               // 00000000C418: 8652FF52 00FFFFFF
	s_cmp_lt_u32 s82, s66                                      // 00000000C420: BF0A4252
	s_cselect_b32 s20, s36, s60                                // 00000000C424: 85143C24
	v_readlane_b32 s82, v3, 25                                 // 00000000C428: D2890052 00013303
	s_and_b32 s82, s82, 0xffffff                               // 00000000C430: 8652FF52 00FFFFFF
	s_cmp_lt_u32 s82, s66                                      // 00000000C438: BF0A4252
	s_cselect_b32 s21, s36, s60                                // 00000000C43C: 85153C24
	s_mov_b64 exec, s[20:21]                                   // 00000000C440: BEFE0114
	global_atomic_add_f32 v6, v118, s[8:9] offset:8            // 00000000C444: DD348008 00087606
	s_mov_b64 exec, s[36:37]                                   // 00000000C44C: BEFE0124
	v_mov_b32_e32 v6, v81                                      // 00000000C450: 7E0C0351
	s_mov_b64 s[60:61], 0                                      // 00000000C454: BEBC0180
	v_readlane_b32 s82, v3, 26                                 // 00000000C458: D2890052 00013503
	s_and_b32 s82, s82, 0xffffff                               // 00000000C460: 8652FF52 00FFFFFF
	s_cmp_lt_u32 s82, s66                                      // 00000000C468: BF0A4252
	s_cselect_b32 s20, s36, s60                                // 00000000C46C: 85143C24
	v_readlane_b32 s82, v3, 27                                 // 00000000C470: D2890052 00013703
	s_and_b32 s82, s82, 0xffffff                               // 00000000C478: 8652FF52 00FFFFFF
	s_cmp_lt_u32 s82, s66                                      // 00000000C480: BF0A4252
	s_cselect_b32 s21, s36, s60                                // 00000000C484: 85153C24
	s_mov_b64 exec, s[20:21]                                   // 00000000C488: BEFE0114
	global_atomic_add_f32 v6, v119, s[8:9] offset:8            // 00000000C48C: DD348008 00087706
	s_mov_b64 exec, s[36:37]                                   // 00000000C494: BEFE0124
	v_mov_b32_e32 v6, v82                                      // 00000000C498: 7E0C0352
	s_mov_b64 s[60:61], 0                                      // 00000000C49C: BEBC0180
	v_readlane_b32 s82, v3, 28                                 // 00000000C4A0: D2890052 00013903
	s_and_b32 s82, s82, 0xffffff                               // 00000000C4A8: 8652FF52 00FFFFFF
	s_cmp_lt_u32 s82, s66                                      // 00000000C4B0: BF0A4252
	s_cselect_b32 s20, s36, s60                                // 00000000C4B4: 85143C24
	v_readlane_b32 s82, v3, 29                                 // 00000000C4B8: D2890052 00013B03
	s_and_b32 s82, s82, 0xffffff                               // 00000000C4C0: 8652FF52 00FFFFFF
	s_cmp_lt_u32 s82, s66                                      // 00000000C4C8: BF0A4252
	s_cselect_b32 s21, s36, s60                                // 00000000C4CC: 85153C24
	s_mov_b64 exec, s[20:21]                                   // 00000000C4D0: BEFE0114
	global_atomic_add_f32 v6, v122, s[8:9] offset:8            // 00000000C4D4: DD348008 00087A06
	s_mov_b64 exec, s[36:37]                                   // 00000000C4DC: BEFE0124
	v_mov_b32_e32 v6, v83                                      // 00000000C4E0: 7E0C0353
	s_mov_b64 s[60:61], 0                                      // 00000000C4E4: BEBC0180
	v_readlane_b32 s82, v3, 30                                 // 00000000C4E8: D2890052 00013D03
	s_and_b32 s82, s82, 0xffffff                               // 00000000C4F0: 8652FF52 00FFFFFF
	s_cmp_lt_u32 s82, s66                                      // 00000000C4F8: BF0A4252
	s_cselect_b32 s20, s36, s60                                // 00000000C4FC: 85143C24
	v_readlane_b32 s82, v3, 31                                 // 00000000C500: D2890052 00013F03
	s_and_b32 s82, s82, 0xffffff                               // 00000000C508: 8652FF52 00FFFFFF
	s_cmp_lt_u32 s82, s66                                      // 00000000C510: BF0A4252
	s_cselect_b32 s21, s36, s60                                // 00000000C514: 85153C24
	s_mov_b64 exec, s[20:21]                                   // 00000000C518: BEFE0114
	global_atomic_add_f32 v6, v123, s[8:9] offset:8            // 00000000C51C: DD348008 00087B06
	s_mov_b64 exec, s[36:37]                                   // 00000000C524: BEFE0124
	v_mov_b32_e32 v6, v84                                      // 00000000C528: 7E0C0354
	s_mov_b64 s[60:61], 0                                      // 00000000C52C: BEBC0180
	v_readlane_b32 s82, v3, 32                                 // 00000000C530: D2890052 00014103
	s_and_b32 s82, s82, 0xffffff                               // 00000000C538: 8652FF52 00FFFFFF
	s_cmp_lt_u32 s82, s66                                      // 00000000C540: BF0A4252
	s_cselect_b32 s20, s36, s60                                // 00000000C544: 85143C24
	v_readlane_b32 s82, v3, 33                                 // 00000000C548: D2890052 00014303
	s_and_b32 s82, s82, 0xffffff                               // 00000000C550: 8652FF52 00FFFFFF
	s_cmp_lt_u32 s82, s66                                      // 00000000C558: BF0A4252
	s_cselect_b32 s21, s36, s60                                // 00000000C55C: 85153C24
	s_mov_b64 exec, s[20:21]                                   // 00000000C560: BEFE0114
	global_atomic_add_f32 v6, v126, s[8:9] offset:8            // 00000000C564: DD348008 00087E06
	s_mov_b64 exec, s[36:37]                                   // 00000000C56C: BEFE0124
	v_mov_b32_e32 v6, v85                                      // 00000000C570: 7E0C0355
	s_mov_b64 s[60:61], 0                                      // 00000000C574: BEBC0180
	v_readlane_b32 s82, v3, 34                                 // 00000000C578: D2890052 00014503
	s_and_b32 s82, s82, 0xffffff                               // 00000000C580: 8652FF52 00FFFFFF
	s_cmp_lt_u32 s82, s66                                      // 00000000C588: BF0A4252
	s_cselect_b32 s20, s36, s60                                // 00000000C58C: 85143C24
	v_readlane_b32 s82, v3, 35                                 // 00000000C590: D2890052 00014703
	s_and_b32 s82, s82, 0xffffff                               // 00000000C598: 8652FF52 00FFFFFF
	s_cmp_lt_u32 s82, s66                                      // 00000000C5A0: BF0A4252
	s_cselect_b32 s21, s36, s60                                // 00000000C5A4: 85153C24
	s_mov_b64 exec, s[20:21]                                   // 00000000C5A8: BEFE0114
	global_atomic_add_f32 v6, v127, s[8:9] offset:8            // 00000000C5AC: DD348008 00087F06
	s_mov_b64 exec, s[36:37]                                   // 00000000C5B4: BEFE0124
	v_mov_b32_e32 v6, v86                                      // 00000000C5B8: 7E0C0356
	s_mov_b64 s[60:61], 0                                      // 00000000C5BC: BEBC0180
	v_readlane_b32 s82, v3, 36                                 // 00000000C5C0: D2890052 00014903
	s_and_b32 s82, s82, 0xffffff                               // 00000000C5C8: 8652FF52 00FFFFFF
	s_cmp_lt_u32 s82, s66                                      // 00000000C5D0: BF0A4252
	s_cselect_b32 s20, s36, s60                                // 00000000C5D4: 85143C24
	v_readlane_b32 s82, v3, 37                                 // 00000000C5D8: D2890052 00014B03
	s_and_b32 s82, s82, 0xffffff                               // 00000000C5E0: 8652FF52 00FFFFFF
	s_cmp_lt_u32 s82, s66                                      // 00000000C5E8: BF0A4252
	s_cselect_b32 s21, s36, s60                                // 00000000C5EC: 85153C24
	s_mov_b64 exec, s[20:21]                                   // 00000000C5F0: BEFE0114
	global_atomic_add_f32 v6, v130, s[8:9] offset:8            // 00000000C5F4: DD348008 00088206
	s_mov_b64 exec, s[36:37]                                   // 00000000C5FC: BEFE0124
	v_mov_b32_e32 v6, v87                                      // 00000000C600: 7E0C0357
	s_mov_b64 s[60:61], 0                                      // 00000000C604: BEBC0180
	v_readlane_b32 s82, v3, 38                                 // 00000000C608: D2890052 00014D03
	s_and_b32 s82, s82, 0xffffff                               // 00000000C610: 8652FF52 00FFFFFF
	s_cmp_lt_u32 s82, s66                                      // 00000000C618: BF0A4252
	s_cselect_b32 s20, s36, s60                                // 00000000C61C: 85143C24
	v_readlane_b32 s82, v3, 39                                 // 00000000C620: D2890052 00014F03
	s_and_b32 s82, s82, 0xffffff                               // 00000000C628: 8652FF52 00FFFFFF
	s_cmp_lt_u32 s82, s66                                      // 00000000C630: BF0A4252
	s_cselect_b32 s21, s36, s60                                // 00000000C634: 85153C24
	s_mov_b64 exec, s[20:21]                                   // 00000000C638: BEFE0114
	global_atomic_add_f32 v6, v131, s[8:9] offset:8            // 00000000C63C: DD348008 00088306
	s_mov_b64 exec, s[36:37]                                   // 00000000C644: BEFE0124
	ds_write_b64 v20, v[132:133]                               // 00000000C648: D89A0000 00008414
	ds_write_b64 v20, v[136:137] offset:2176                   // 00000000C650: D89A0880 00008814
	ds_write_b64 v20, v[140:141] offset:4352                   // 00000000C658: D89A1100 00008C14
	ds_write_b64 v20, v[144:145] offset:6528                   // 00000000C660: D89A1980 00009014
	ds_write_b64 v20, v[148:149] offset:8704                   // 00000000C668: D89A2200 00009414
	ds_write_b64 v20, v[152:153] offset:10880                  // 00000000C670: D89A2A80 00009814
	ds_write_b64 v20, v[156:157] offset:13056                  // 00000000C678: D89A3300 00009C14
	ds_write_b64 v20, v[160:161] offset:15232                  // 00000000C680: D89A3B80 0000A014
	ds_write_b64 v20, v[164:165] offset:17408                  // 00000000C688: D89A4400 0000A414
	ds_write_b64 v20, v[168:169] offset:19584                  // 00000000C690: D89A4C80 0000A814
	s_waitcnt lgkmcnt(0)                                       // 00000000C698: BF8CC07F
	s_barrier                                                  // 00000000C69C: BF8A0000
	ds_read_b32 v132, v21                                      // 00000000C6A0: D86C0000 84000015
	ds_read_b32 v133, v21 offset:64                            // 00000000C6A8: D86C0040 85000015
	ds_read_b32 v136, v21 offset:2176                          // 00000000C6B0: D86C0880 88000015
	ds_read_b32 v137, v21 offset:2240                          // 00000000C6B8: D86C08C0 89000015
	ds_read_b32 v140, v21 offset:4352                          // 00000000C6C0: D86C1100 8C000015
	ds_read_b32 v141, v21 offset:4416                          // 00000000C6C8: D86C1140 8D000015
	ds_read_b32 v144, v21 offset:6528                          // 00000000C6D0: D86C1980 90000015
	ds_read_b32 v145, v21 offset:6592                          // 00000000C6D8: D86C19C0 91000015
	ds_read_b32 v148, v21 offset:8704                          // 00000000C6E0: D86C2200 94000015
	ds_read_b32 v149, v21 offset:8768                          // 00000000C6E8: D86C2240 95000015
	ds_read_b32 v152, v21 offset:10880                         // 00000000C6F0: D86C2A80 98000015
	ds_read_b32 v153, v21 offset:10944                         // 00000000C6F8: D86C2AC0 99000015
	ds_read_b32 v156, v21 offset:13056                         // 00000000C700: D86C3300 9C000015
	ds_read_b32 v157, v21 offset:13120                         // 00000000C708: D86C3340 9D000015
	ds_read_b32 v160, v21 offset:15232                         // 00000000C710: D86C3B80 A0000015
	ds_read_b32 v161, v21 offset:15296                         // 00000000C718: D86C3BC0 A1000015
	ds_read_b32 v164, v21 offset:17408                         // 00000000C720: D86C4400 A4000015
	ds_read_b32 v165, v21 offset:17472                         // 00000000C728: D86C4440 A5000015
	ds_read_b32 v168, v21 offset:19584                         // 00000000C730: D86C4C80 A8000015
	ds_read_b32 v169, v21 offset:19648                         // 00000000C738: D86C4CC0 A9000015
	s_mul_i32 s60, s65, 4                                      // 00000000C740: 923C8441
	s_add_u32 s8, s60, s8                                      // 00000000C744: 8008083C
	s_addc_u32 s9, 0, s9                                       // 00000000C748: 82090980
	s_waitcnt lgkmcnt(0)                                       // 00000000C74C: BF8CC07F
	v_mov_b32_e32 v7, 0                                        // 00000000C750: 7E0E0280
	s_mov_b64 exec, s[36:37]                                   // 00000000C754: BEFE0124
	v_mov_b32_e32 v6, v68                                      // 00000000C758: 7E0C0344
	s_mov_b64 s[60:61], 0                                      // 00000000C75C: BEBC0180
	v_readlane_b32 s82, v3, 0                                  // 00000000C760: D2890052 00010103
	s_and_b32 s82, s82, 0xffffff                               // 00000000C768: 8652FF52 00FFFFFF
	s_cmp_lt_u32 s82, s66                                      // 00000000C770: BF0A4252
	s_cselect_b32 s20, s36, s60                                // 00000000C774: 85143C24
	v_readlane_b32 s82, v3, 1                                  // 00000000C778: D2890052 00010303
	s_and_b32 s82, s82, 0xffffff                               // 00000000C780: 8652FF52 00FFFFFF
	s_cmp_lt_u32 s82, s66                                      // 00000000C788: BF0A4252
	s_cselect_b32 s21, s36, s60                                // 00000000C78C: 85153C24
	s_mov_b64 exec, s[20:21]                                   // 00000000C790: BEFE0114
	global_atomic_add_f32 v6, v132, s[8:9]                     // 00000000C794: DD348000 00088406
	s_mov_b64 exec, s[36:37]                                   // 00000000C79C: BEFE0124
	v_mov_b32_e32 v6, v69                                      // 00000000C7A0: 7E0C0345
	s_mov_b64 s[60:61], 0                                      // 00000000C7A4: BEBC0180
	v_readlane_b32 s82, v3, 2                                  // 00000000C7A8: D2890052 00010503
	s_and_b32 s82, s82, 0xffffff                               // 00000000C7B0: 8652FF52 00FFFFFF
	s_cmp_lt_u32 s82, s66                                      // 00000000C7B8: BF0A4252
	s_cselect_b32 s20, s36, s60                                // 00000000C7BC: 85143C24
	v_readlane_b32 s82, v3, 3                                  // 00000000C7C0: D2890052 00010703
	s_and_b32 s82, s82, 0xffffff                               // 00000000C7C8: 8652FF52 00FFFFFF
	s_cmp_lt_u32 s82, s66                                      // 00000000C7D0: BF0A4252
	s_cselect_b32 s21, s36, s60                                // 00000000C7D4: 85153C24
	s_mov_b64 exec, s[20:21]                                   // 00000000C7D8: BEFE0114
	global_atomic_add_f32 v6, v133, s[8:9]                     // 00000000C7DC: DD348000 00088506
	s_mov_b64 exec, s[36:37]                                   // 00000000C7E4: BEFE0124
	v_mov_b32_e32 v6, v70                                      // 00000000C7E8: 7E0C0346
	s_mov_b64 s[60:61], 0                                      // 00000000C7EC: BEBC0180
	v_readlane_b32 s82, v3, 4                                  // 00000000C7F0: D2890052 00010903
	s_and_b32 s82, s82, 0xffffff                               // 00000000C7F8: 8652FF52 00FFFFFF
	s_cmp_lt_u32 s82, s66                                      // 00000000C800: BF0A4252
	s_cselect_b32 s20, s36, s60                                // 00000000C804: 85143C24
	v_readlane_b32 s82, v3, 5                                  // 00000000C808: D2890052 00010B03
	s_and_b32 s82, s82, 0xffffff                               // 00000000C810: 8652FF52 00FFFFFF
	s_cmp_lt_u32 s82, s66                                      // 00000000C818: BF0A4252
	s_cselect_b32 s21, s36, s60                                // 00000000C81C: 85153C24
	s_mov_b64 exec, s[20:21]                                   // 00000000C820: BEFE0114
	global_atomic_add_f32 v6, v136, s[8:9]                     // 00000000C824: DD348000 00088806
	s_mov_b64 exec, s[36:37]                                   // 00000000C82C: BEFE0124
	v_mov_b32_e32 v6, v71                                      // 00000000C830: 7E0C0347
	s_mov_b64 s[60:61], 0                                      // 00000000C834: BEBC0180
	v_readlane_b32 s82, v3, 6                                  // 00000000C838: D2890052 00010D03
	s_and_b32 s82, s82, 0xffffff                               // 00000000C840: 8652FF52 00FFFFFF
	s_cmp_lt_u32 s82, s66                                      // 00000000C848: BF0A4252
	s_cselect_b32 s20, s36, s60                                // 00000000C84C: 85143C24
	v_readlane_b32 s82, v3, 7                                  // 00000000C850: D2890052 00010F03
	s_and_b32 s82, s82, 0xffffff                               // 00000000C858: 8652FF52 00FFFFFF
	s_cmp_lt_u32 s82, s66                                      // 00000000C860: BF0A4252
	s_cselect_b32 s21, s36, s60                                // 00000000C864: 85153C24
	s_mov_b64 exec, s[20:21]                                   // 00000000C868: BEFE0114
	global_atomic_add_f32 v6, v137, s[8:9]                     // 00000000C86C: DD348000 00088906
	s_mov_b64 exec, s[36:37]                                   // 00000000C874: BEFE0124
	v_mov_b32_e32 v6, v72                                      // 00000000C878: 7E0C0348
	s_mov_b64 s[60:61], 0                                      // 00000000C87C: BEBC0180
	v_readlane_b32 s82, v3, 8                                  // 00000000C880: D2890052 00011103
	s_and_b32 s82, s82, 0xffffff                               // 00000000C888: 8652FF52 00FFFFFF
	s_cmp_lt_u32 s82, s66                                      // 00000000C890: BF0A4252
	s_cselect_b32 s20, s36, s60                                // 00000000C894: 85143C24
	v_readlane_b32 s82, v3, 9                                  // 00000000C898: D2890052 00011303
	s_and_b32 s82, s82, 0xffffff                               // 00000000C8A0: 8652FF52 00FFFFFF
	s_cmp_lt_u32 s82, s66                                      // 00000000C8A8: BF0A4252
	s_cselect_b32 s21, s36, s60                                // 00000000C8AC: 85153C24
	s_mov_b64 exec, s[20:21]                                   // 00000000C8B0: BEFE0114
	global_atomic_add_f32 v6, v140, s[8:9]                     // 00000000C8B4: DD348000 00088C06
	s_mov_b64 exec, s[36:37]                                   // 00000000C8BC: BEFE0124
	v_mov_b32_e32 v6, v73                                      // 00000000C8C0: 7E0C0349
	s_mov_b64 s[60:61], 0                                      // 00000000C8C4: BEBC0180
	v_readlane_b32 s82, v3, 10                                 // 00000000C8C8: D2890052 00011503
	s_and_b32 s82, s82, 0xffffff                               // 00000000C8D0: 8652FF52 00FFFFFF
	s_cmp_lt_u32 s82, s66                                      // 00000000C8D8: BF0A4252
	s_cselect_b32 s20, s36, s60                                // 00000000C8DC: 85143C24
	v_readlane_b32 s82, v3, 11                                 // 00000000C8E0: D2890052 00011703
	s_and_b32 s82, s82, 0xffffff                               // 00000000C8E8: 8652FF52 00FFFFFF
	s_cmp_lt_u32 s82, s66                                      // 00000000C8F0: BF0A4252
	s_cselect_b32 s21, s36, s60                                // 00000000C8F4: 85153C24
	s_mov_b64 exec, s[20:21]                                   // 00000000C8F8: BEFE0114
	global_atomic_add_f32 v6, v141, s[8:9]                     // 00000000C8FC: DD348000 00088D06
	s_mov_b64 exec, s[36:37]                                   // 00000000C904: BEFE0124
	v_mov_b32_e32 v6, v74                                      // 00000000C908: 7E0C034A
	s_mov_b64 s[60:61], 0                                      // 00000000C90C: BEBC0180
	v_readlane_b32 s82, v3, 12                                 // 00000000C910: D2890052 00011903
	s_and_b32 s82, s82, 0xffffff                               // 00000000C918: 8652FF52 00FFFFFF
	s_cmp_lt_u32 s82, s66                                      // 00000000C920: BF0A4252
	s_cselect_b32 s20, s36, s60                                // 00000000C924: 85143C24
	v_readlane_b32 s82, v3, 13                                 // 00000000C928: D2890052 00011B03
	s_and_b32 s82, s82, 0xffffff                               // 00000000C930: 8652FF52 00FFFFFF
	s_cmp_lt_u32 s82, s66                                      // 00000000C938: BF0A4252
	s_cselect_b32 s21, s36, s60                                // 00000000C93C: 85153C24
	s_mov_b64 exec, s[20:21]                                   // 00000000C940: BEFE0114
	global_atomic_add_f32 v6, v144, s[8:9]                     // 00000000C944: DD348000 00089006
	s_mov_b64 exec, s[36:37]                                   // 00000000C94C: BEFE0124
	v_mov_b32_e32 v6, v75                                      // 00000000C950: 7E0C034B
	s_mov_b64 s[60:61], 0                                      // 00000000C954: BEBC0180
	v_readlane_b32 s82, v3, 14                                 // 00000000C958: D2890052 00011D03
	s_and_b32 s82, s82, 0xffffff                               // 00000000C960: 8652FF52 00FFFFFF
	s_cmp_lt_u32 s82, s66                                      // 00000000C968: BF0A4252
	s_cselect_b32 s20, s36, s60                                // 00000000C96C: 85143C24
	v_readlane_b32 s82, v3, 15                                 // 00000000C970: D2890052 00011F03
	s_and_b32 s82, s82, 0xffffff                               // 00000000C978: 8652FF52 00FFFFFF
	s_cmp_lt_u32 s82, s66                                      // 00000000C980: BF0A4252
	s_cselect_b32 s21, s36, s60                                // 00000000C984: 85153C24
	s_mov_b64 exec, s[20:21]                                   // 00000000C988: BEFE0114
	global_atomic_add_f32 v6, v145, s[8:9]                     // 00000000C98C: DD348000 00089106
	s_mov_b64 exec, s[36:37]                                   // 00000000C994: BEFE0124
	v_mov_b32_e32 v6, v76                                      // 00000000C998: 7E0C034C
	s_mov_b64 s[60:61], 0                                      // 00000000C99C: BEBC0180
	v_readlane_b32 s82, v3, 16                                 // 00000000C9A0: D2890052 00012103
	s_and_b32 s82, s82, 0xffffff                               // 00000000C9A8: 8652FF52 00FFFFFF
	s_cmp_lt_u32 s82, s66                                      // 00000000C9B0: BF0A4252
	s_cselect_b32 s20, s36, s60                                // 00000000C9B4: 85143C24
	v_readlane_b32 s82, v3, 17                                 // 00000000C9B8: D2890052 00012303
	s_and_b32 s82, s82, 0xffffff                               // 00000000C9C0: 8652FF52 00FFFFFF
	s_cmp_lt_u32 s82, s66                                      // 00000000C9C8: BF0A4252
	s_cselect_b32 s21, s36, s60                                // 00000000C9CC: 85153C24
	s_mov_b64 exec, s[20:21]                                   // 00000000C9D0: BEFE0114
	global_atomic_add_f32 v6, v148, s[8:9]                     // 00000000C9D4: DD348000 00089406
	s_mov_b64 exec, s[36:37]                                   // 00000000C9DC: BEFE0124
	v_mov_b32_e32 v6, v77                                      // 00000000C9E0: 7E0C034D
	s_mov_b64 s[60:61], 0                                      // 00000000C9E4: BEBC0180
	v_readlane_b32 s82, v3, 18                                 // 00000000C9E8: D2890052 00012503
	s_and_b32 s82, s82, 0xffffff                               // 00000000C9F0: 8652FF52 00FFFFFF
	s_cmp_lt_u32 s82, s66                                      // 00000000C9F8: BF0A4252
	s_cselect_b32 s20, s36, s60                                // 00000000C9FC: 85143C24
	v_readlane_b32 s82, v3, 19                                 // 00000000CA00: D2890052 00012703
	s_and_b32 s82, s82, 0xffffff                               // 00000000CA08: 8652FF52 00FFFFFF
	s_cmp_lt_u32 s82, s66                                      // 00000000CA10: BF0A4252
	s_cselect_b32 s21, s36, s60                                // 00000000CA14: 85153C24
	s_mov_b64 exec, s[20:21]                                   // 00000000CA18: BEFE0114
	global_atomic_add_f32 v6, v149, s[8:9]                     // 00000000CA1C: DD348000 00089506
	s_mov_b64 exec, s[36:37]                                   // 00000000CA24: BEFE0124
	v_mov_b32_e32 v6, v78                                      // 00000000CA28: 7E0C034E
	s_mov_b64 s[60:61], 0                                      // 00000000CA2C: BEBC0180
	v_readlane_b32 s82, v3, 20                                 // 00000000CA30: D2890052 00012903
	s_and_b32 s82, s82, 0xffffff                               // 00000000CA38: 8652FF52 00FFFFFF
	s_cmp_lt_u32 s82, s66                                      // 00000000CA40: BF0A4252
	s_cselect_b32 s20, s36, s60                                // 00000000CA44: 85143C24
	v_readlane_b32 s82, v3, 21                                 // 00000000CA48: D2890052 00012B03
	s_and_b32 s82, s82, 0xffffff                               // 00000000CA50: 8652FF52 00FFFFFF
	s_cmp_lt_u32 s82, s66                                      // 00000000CA58: BF0A4252
	s_cselect_b32 s21, s36, s60                                // 00000000CA5C: 85153C24
	s_mov_b64 exec, s[20:21]                                   // 00000000CA60: BEFE0114
	global_atomic_add_f32 v6, v152, s[8:9]                     // 00000000CA64: DD348000 00089806
	s_mov_b64 exec, s[36:37]                                   // 00000000CA6C: BEFE0124
	v_mov_b32_e32 v6, v79                                      // 00000000CA70: 7E0C034F
	s_mov_b64 s[60:61], 0                                      // 00000000CA74: BEBC0180
	v_readlane_b32 s82, v3, 22                                 // 00000000CA78: D2890052 00012D03
	s_and_b32 s82, s82, 0xffffff                               // 00000000CA80: 8652FF52 00FFFFFF
	s_cmp_lt_u32 s82, s66                                      // 00000000CA88: BF0A4252
	s_cselect_b32 s20, s36, s60                                // 00000000CA8C: 85143C24
	v_readlane_b32 s82, v3, 23                                 // 00000000CA90: D2890052 00012F03
	s_and_b32 s82, s82, 0xffffff                               // 00000000CA98: 8652FF52 00FFFFFF
	s_cmp_lt_u32 s82, s66                                      // 00000000CAA0: BF0A4252
	s_cselect_b32 s21, s36, s60                                // 00000000CAA4: 85153C24
	s_mov_b64 exec, s[20:21]                                   // 00000000CAA8: BEFE0114
	global_atomic_add_f32 v6, v153, s[8:9]                     // 00000000CAAC: DD348000 00089906
	s_mov_b64 exec, s[36:37]                                   // 00000000CAB4: BEFE0124
	v_mov_b32_e32 v6, v80                                      // 00000000CAB8: 7E0C0350
	s_mov_b64 s[60:61], 0                                      // 00000000CABC: BEBC0180
	v_readlane_b32 s82, v3, 24                                 // 00000000CAC0: D2890052 00013103
	s_and_b32 s82, s82, 0xffffff                               // 00000000CAC8: 8652FF52 00FFFFFF
	s_cmp_lt_u32 s82, s66                                      // 00000000CAD0: BF0A4252
	s_cselect_b32 s20, s36, s60                                // 00000000CAD4: 85143C24
	v_readlane_b32 s82, v3, 25                                 // 00000000CAD8: D2890052 00013303
	s_and_b32 s82, s82, 0xffffff                               // 00000000CAE0: 8652FF52 00FFFFFF
	s_cmp_lt_u32 s82, s66                                      // 00000000CAE8: BF0A4252
	s_cselect_b32 s21, s36, s60                                // 00000000CAEC: 85153C24
	s_mov_b64 exec, s[20:21]                                   // 00000000CAF0: BEFE0114
	global_atomic_add_f32 v6, v156, s[8:9]                     // 00000000CAF4: DD348000 00089C06
	s_mov_b64 exec, s[36:37]                                   // 00000000CAFC: BEFE0124
	v_mov_b32_e32 v6, v81                                      // 00000000CB00: 7E0C0351
	s_mov_b64 s[60:61], 0                                      // 00000000CB04: BEBC0180
	v_readlane_b32 s82, v3, 26                                 // 00000000CB08: D2890052 00013503
	s_and_b32 s82, s82, 0xffffff                               // 00000000CB10: 8652FF52 00FFFFFF
	s_cmp_lt_u32 s82, s66                                      // 00000000CB18: BF0A4252
	s_cselect_b32 s20, s36, s60                                // 00000000CB1C: 85143C24
	v_readlane_b32 s82, v3, 27                                 // 00000000CB20: D2890052 00013703
	s_and_b32 s82, s82, 0xffffff                               // 00000000CB28: 8652FF52 00FFFFFF
	s_cmp_lt_u32 s82, s66                                      // 00000000CB30: BF0A4252
	s_cselect_b32 s21, s36, s60                                // 00000000CB34: 85153C24
	s_mov_b64 exec, s[20:21]                                   // 00000000CB38: BEFE0114
	global_atomic_add_f32 v6, v157, s[8:9]                     // 00000000CB3C: DD348000 00089D06
	s_mov_b64 exec, s[36:37]                                   // 00000000CB44: BEFE0124
	v_mov_b32_e32 v6, v82                                      // 00000000CB48: 7E0C0352
	s_mov_b64 s[60:61], 0                                      // 00000000CB4C: BEBC0180
	v_readlane_b32 s82, v3, 28                                 // 00000000CB50: D2890052 00013903
	s_and_b32 s82, s82, 0xffffff                               // 00000000CB58: 8652FF52 00FFFFFF
	s_cmp_lt_u32 s82, s66                                      // 00000000CB60: BF0A4252
	s_cselect_b32 s20, s36, s60                                // 00000000CB64: 85143C24
	v_readlane_b32 s82, v3, 29                                 // 00000000CB68: D2890052 00013B03
	s_and_b32 s82, s82, 0xffffff                               // 00000000CB70: 8652FF52 00FFFFFF
	s_cmp_lt_u32 s82, s66                                      // 00000000CB78: BF0A4252
	s_cselect_b32 s21, s36, s60                                // 00000000CB7C: 85153C24
	s_mov_b64 exec, s[20:21]                                   // 00000000CB80: BEFE0114
	global_atomic_add_f32 v6, v160, s[8:9]                     // 00000000CB84: DD348000 0008A006
	s_mov_b64 exec, s[36:37]                                   // 00000000CB8C: BEFE0124
	v_mov_b32_e32 v6, v83                                      // 00000000CB90: 7E0C0353
	s_mov_b64 s[60:61], 0                                      // 00000000CB94: BEBC0180
	v_readlane_b32 s82, v3, 30                                 // 00000000CB98: D2890052 00013D03
	s_and_b32 s82, s82, 0xffffff                               // 00000000CBA0: 8652FF52 00FFFFFF
	s_cmp_lt_u32 s82, s66                                      // 00000000CBA8: BF0A4252
	s_cselect_b32 s20, s36, s60                                // 00000000CBAC: 85143C24
	v_readlane_b32 s82, v3, 31                                 // 00000000CBB0: D2890052 00013F03
	s_and_b32 s82, s82, 0xffffff                               // 00000000CBB8: 8652FF52 00FFFFFF
	s_cmp_lt_u32 s82, s66                                      // 00000000CBC0: BF0A4252
	s_cselect_b32 s21, s36, s60                                // 00000000CBC4: 85153C24
	s_mov_b64 exec, s[20:21]                                   // 00000000CBC8: BEFE0114
	global_atomic_add_f32 v6, v161, s[8:9]                     // 00000000CBCC: DD348000 0008A106
	s_mov_b64 exec, s[36:37]                                   // 00000000CBD4: BEFE0124
	v_mov_b32_e32 v6, v84                                      // 00000000CBD8: 7E0C0354
	s_mov_b64 s[60:61], 0                                      // 00000000CBDC: BEBC0180
	v_readlane_b32 s82, v3, 32                                 // 00000000CBE0: D2890052 00014103
	s_and_b32 s82, s82, 0xffffff                               // 00000000CBE8: 8652FF52 00FFFFFF
	s_cmp_lt_u32 s82, s66                                      // 00000000CBF0: BF0A4252
	s_cselect_b32 s20, s36, s60                                // 00000000CBF4: 85143C24
	v_readlane_b32 s82, v3, 33                                 // 00000000CBF8: D2890052 00014303
	s_and_b32 s82, s82, 0xffffff                               // 00000000CC00: 8652FF52 00FFFFFF
	s_cmp_lt_u32 s82, s66                                      // 00000000CC08: BF0A4252
	s_cselect_b32 s21, s36, s60                                // 00000000CC0C: 85153C24
	s_mov_b64 exec, s[20:21]                                   // 00000000CC10: BEFE0114
	global_atomic_add_f32 v6, v164, s[8:9]                     // 00000000CC14: DD348000 0008A406
	s_mov_b64 exec, s[36:37]                                   // 00000000CC1C: BEFE0124
	v_mov_b32_e32 v6, v85                                      // 00000000CC20: 7E0C0355
	s_mov_b64 s[60:61], 0                                      // 00000000CC24: BEBC0180
	v_readlane_b32 s82, v3, 34                                 // 00000000CC28: D2890052 00014503
	s_and_b32 s82, s82, 0xffffff                               // 00000000CC30: 8652FF52 00FFFFFF
	s_cmp_lt_u32 s82, s66                                      // 00000000CC38: BF0A4252
	s_cselect_b32 s20, s36, s60                                // 00000000CC3C: 85143C24
	v_readlane_b32 s82, v3, 35                                 // 00000000CC40: D2890052 00014703
	s_and_b32 s82, s82, 0xffffff                               // 00000000CC48: 8652FF52 00FFFFFF
	s_cmp_lt_u32 s82, s66                                      // 00000000CC50: BF0A4252
	s_cselect_b32 s21, s36, s60                                // 00000000CC54: 85153C24
	s_mov_b64 exec, s[20:21]                                   // 00000000CC58: BEFE0114
	global_atomic_add_f32 v6, v165, s[8:9]                     // 00000000CC5C: DD348000 0008A506
	s_mov_b64 exec, s[36:37]                                   // 00000000CC64: BEFE0124
	v_mov_b32_e32 v6, v86                                      // 00000000CC68: 7E0C0356
	s_mov_b64 s[60:61], 0                                      // 00000000CC6C: BEBC0180
	v_readlane_b32 s82, v3, 36                                 // 00000000CC70: D2890052 00014903
	s_and_b32 s82, s82, 0xffffff                               // 00000000CC78: 8652FF52 00FFFFFF
	s_cmp_lt_u32 s82, s66                                      // 00000000CC80: BF0A4252
	s_cselect_b32 s20, s36, s60                                // 00000000CC84: 85143C24
	v_readlane_b32 s82, v3, 37                                 // 00000000CC88: D2890052 00014B03
	s_and_b32 s82, s82, 0xffffff                               // 00000000CC90: 8652FF52 00FFFFFF
	s_cmp_lt_u32 s82, s66                                      // 00000000CC98: BF0A4252
	s_cselect_b32 s21, s36, s60                                // 00000000CC9C: 85153C24
	s_mov_b64 exec, s[20:21]                                   // 00000000CCA0: BEFE0114
	global_atomic_add_f32 v6, v168, s[8:9]                     // 00000000CCA4: DD348000 0008A806
	s_mov_b64 exec, s[36:37]                                   // 00000000CCAC: BEFE0124
	v_mov_b32_e32 v6, v87                                      // 00000000CCB0: 7E0C0357
	s_mov_b64 s[60:61], 0                                      // 00000000CCB4: BEBC0180
	v_readlane_b32 s82, v3, 38                                 // 00000000CCB8: D2890052 00014D03
	s_and_b32 s82, s82, 0xffffff                               // 00000000CCC0: 8652FF52 00FFFFFF
	s_cmp_lt_u32 s82, s66                                      // 00000000CCC8: BF0A4252
	s_cselect_b32 s20, s36, s60                                // 00000000CCCC: 85143C24
	v_readlane_b32 s82, v3, 39                                 // 00000000CCD0: D2890052 00014F03
	s_and_b32 s82, s82, 0xffffff                               // 00000000CCD8: 8652FF52 00FFFFFF
	s_cmp_lt_u32 s82, s66                                      // 00000000CCE0: BF0A4252
	s_cselect_b32 s21, s36, s60                                // 00000000CCE4: 85153C24
	s_mov_b64 exec, s[20:21]                                   // 00000000CCE8: BEFE0114
	global_atomic_add_f32 v6, v169, s[8:9]                     // 00000000CCEC: DD348000 0008A906
	s_mov_b64 exec, s[36:37]                                   // 00000000CCF4: BEFE0124
	ds_write_b64 v20, v[134:135]                               // 00000000CCF8: D89A0000 00008614
	ds_write_b64 v20, v[138:139] offset:2176                   // 00000000CD00: D89A0880 00008A14
	ds_write_b64 v20, v[142:143] offset:4352                   // 00000000CD08: D89A1100 00008E14
	ds_write_b64 v20, v[146:147] offset:6528                   // 00000000CD10: D89A1980 00009214
	ds_write_b64 v20, v[150:151] offset:8704                   // 00000000CD18: D89A2200 00009614
	ds_write_b64 v20, v[154:155] offset:10880                  // 00000000CD20: D89A2A80 00009A14
	ds_write_b64 v20, v[158:159] offset:13056                  // 00000000CD28: D89A3300 00009E14
	ds_write_b64 v20, v[162:163] offset:15232                  // 00000000CD30: D89A3B80 0000A214
	ds_write_b64 v20, v[166:167] offset:17408                  // 00000000CD38: D89A4400 0000A614
	ds_write_b64 v20, v[170:171] offset:19584                  // 00000000CD40: D89A4C80 0000AA14
	s_waitcnt lgkmcnt(0)                                       // 00000000CD48: BF8CC07F
	s_barrier                                                  // 00000000CD4C: BF8A0000
	ds_read_b32 v134, v21                                      // 00000000CD50: D86C0000 86000015
	ds_read_b32 v135, v21 offset:64                            // 00000000CD58: D86C0040 87000015
	ds_read_b32 v138, v21 offset:2176                          // 00000000CD60: D86C0880 8A000015
	ds_read_b32 v139, v21 offset:2240                          // 00000000CD68: D86C08C0 8B000015
	ds_read_b32 v142, v21 offset:4352                          // 00000000CD70: D86C1100 8E000015
	ds_read_b32 v143, v21 offset:4416                          // 00000000CD78: D86C1140 8F000015
	ds_read_b32 v146, v21 offset:6528                          // 00000000CD80: D86C1980 92000015
	ds_read_b32 v147, v21 offset:6592                          // 00000000CD88: D86C19C0 93000015
	ds_read_b32 v150, v21 offset:8704                          // 00000000CD90: D86C2200 96000015
	ds_read_b32 v151, v21 offset:8768                          // 00000000CD98: D86C2240 97000015
	ds_read_b32 v154, v21 offset:10880                         // 00000000CDA0: D86C2A80 9A000015
	ds_read_b32 v155, v21 offset:10944                         // 00000000CDA8: D86C2AC0 9B000015
	ds_read_b32 v158, v21 offset:13056                         // 00000000CDB0: D86C3300 9E000015
	ds_read_b32 v159, v21 offset:13120                         // 00000000CDB8: D86C3340 9F000015
	ds_read_b32 v162, v21 offset:15232                         // 00000000CDC0: D86C3B80 A2000015
	ds_read_b32 v163, v21 offset:15296                         // 00000000CDC8: D86C3BC0 A3000015
	ds_read_b32 v166, v21 offset:17408                         // 00000000CDD0: D86C4400 A6000015
	ds_read_b32 v167, v21 offset:17472                         // 00000000CDD8: D86C4440 A7000015
	ds_read_b32 v170, v21 offset:19584                         // 00000000CDE0: D86C4C80 AA000015
	ds_read_b32 v171, v21 offset:19648                         // 00000000CDE8: D86C4CC0 AB000015
	s_waitcnt lgkmcnt(0)                                       // 00000000CDF0: BF8CC07F
	v_mov_b32_e32 v7, 0                                        // 00000000CDF4: 7E0E0280
	s_mov_b64 exec, s[36:37]                                   // 00000000CDF8: BEFE0124
	v_mov_b32_e32 v6, v68                                      // 00000000CDFC: 7E0C0344
	s_mov_b64 s[60:61], 0                                      // 00000000CE00: BEBC0180
	v_readlane_b32 s82, v3, 0                                  // 00000000CE04: D2890052 00010103
	s_and_b32 s82, s82, 0xffffff                               // 00000000CE0C: 8652FF52 00FFFFFF
	s_cmp_lt_u32 s82, s66                                      // 00000000CE14: BF0A4252
	s_cselect_b32 s20, s36, s60                                // 00000000CE18: 85143C24
	v_readlane_b32 s82, v3, 1                                  // 00000000CE1C: D2890052 00010303
	s_and_b32 s82, s82, 0xffffff                               // 00000000CE24: 8652FF52 00FFFFFF
	s_cmp_lt_u32 s82, s66                                      // 00000000CE2C: BF0A4252
	s_cselect_b32 s21, s36, s60                                // 00000000CE30: 85153C24
	s_mov_b64 exec, s[20:21]                                   // 00000000CE34: BEFE0114
	global_atomic_add_f32 v6, v134, s[8:9] offset:8            // 00000000CE38: DD348008 00088606
	s_mov_b64 exec, s[36:37]                                   // 00000000CE40: BEFE0124
	v_mov_b32_e32 v6, v69                                      // 00000000CE44: 7E0C0345
	s_mov_b64 s[60:61], 0                                      // 00000000CE48: BEBC0180
	v_readlane_b32 s82, v3, 2                                  // 00000000CE4C: D2890052 00010503
	s_and_b32 s82, s82, 0xffffff                               // 00000000CE54: 8652FF52 00FFFFFF
	s_cmp_lt_u32 s82, s66                                      // 00000000CE5C: BF0A4252
	s_cselect_b32 s20, s36, s60                                // 00000000CE60: 85143C24
	v_readlane_b32 s82, v3, 3                                  // 00000000CE64: D2890052 00010703
	s_and_b32 s82, s82, 0xffffff                               // 00000000CE6C: 8652FF52 00FFFFFF
	s_cmp_lt_u32 s82, s66                                      // 00000000CE74: BF0A4252
	s_cselect_b32 s21, s36, s60                                // 00000000CE78: 85153C24
	s_mov_b64 exec, s[20:21]                                   // 00000000CE7C: BEFE0114
	global_atomic_add_f32 v6, v135, s[8:9] offset:8            // 00000000CE80: DD348008 00088706
	s_mov_b64 exec, s[36:37]                                   // 00000000CE88: BEFE0124
	v_mov_b32_e32 v6, v70                                      // 00000000CE8C: 7E0C0346
	s_mov_b64 s[60:61], 0                                      // 00000000CE90: BEBC0180
	v_readlane_b32 s82, v3, 4                                  // 00000000CE94: D2890052 00010903
	s_and_b32 s82, s82, 0xffffff                               // 00000000CE9C: 8652FF52 00FFFFFF
	s_cmp_lt_u32 s82, s66                                      // 00000000CEA4: BF0A4252
	s_cselect_b32 s20, s36, s60                                // 00000000CEA8: 85143C24
	v_readlane_b32 s82, v3, 5                                  // 00000000CEAC: D2890052 00010B03
	s_and_b32 s82, s82, 0xffffff                               // 00000000CEB4: 8652FF52 00FFFFFF
	s_cmp_lt_u32 s82, s66                                      // 00000000CEBC: BF0A4252
	s_cselect_b32 s21, s36, s60                                // 00000000CEC0: 85153C24
	s_mov_b64 exec, s[20:21]                                   // 00000000CEC4: BEFE0114
	global_atomic_add_f32 v6, v138, s[8:9] offset:8            // 00000000CEC8: DD348008 00088A06
	s_mov_b64 exec, s[36:37]                                   // 00000000CED0: BEFE0124
	v_mov_b32_e32 v6, v71                                      // 00000000CED4: 7E0C0347
	s_mov_b64 s[60:61], 0                                      // 00000000CED8: BEBC0180
	v_readlane_b32 s82, v3, 6                                  // 00000000CEDC: D2890052 00010D03
	s_and_b32 s82, s82, 0xffffff                               // 00000000CEE4: 8652FF52 00FFFFFF
	s_cmp_lt_u32 s82, s66                                      // 00000000CEEC: BF0A4252
	s_cselect_b32 s20, s36, s60                                // 00000000CEF0: 85143C24
	v_readlane_b32 s82, v3, 7                                  // 00000000CEF4: D2890052 00010F03
	s_and_b32 s82, s82, 0xffffff                               // 00000000CEFC: 8652FF52 00FFFFFF
	s_cmp_lt_u32 s82, s66                                      // 00000000CF04: BF0A4252
	s_cselect_b32 s21, s36, s60                                // 00000000CF08: 85153C24
	s_mov_b64 exec, s[20:21]                                   // 00000000CF0C: BEFE0114
	global_atomic_add_f32 v6, v139, s[8:9] offset:8            // 00000000CF10: DD348008 00088B06
	s_mov_b64 exec, s[36:37]                                   // 00000000CF18: BEFE0124
	v_mov_b32_e32 v6, v72                                      // 00000000CF1C: 7E0C0348
	s_mov_b64 s[60:61], 0                                      // 00000000CF20: BEBC0180
	v_readlane_b32 s82, v3, 8                                  // 00000000CF24: D2890052 00011103
	s_and_b32 s82, s82, 0xffffff                               // 00000000CF2C: 8652FF52 00FFFFFF
	s_cmp_lt_u32 s82, s66                                      // 00000000CF34: BF0A4252
	s_cselect_b32 s20, s36, s60                                // 00000000CF38: 85143C24
	v_readlane_b32 s82, v3, 9                                  // 00000000CF3C: D2890052 00011303
	s_and_b32 s82, s82, 0xffffff                               // 00000000CF44: 8652FF52 00FFFFFF
	s_cmp_lt_u32 s82, s66                                      // 00000000CF4C: BF0A4252
	s_cselect_b32 s21, s36, s60                                // 00000000CF50: 85153C24
	s_mov_b64 exec, s[20:21]                                   // 00000000CF54: BEFE0114
	global_atomic_add_f32 v6, v142, s[8:9] offset:8            // 00000000CF58: DD348008 00088E06
	s_mov_b64 exec, s[36:37]                                   // 00000000CF60: BEFE0124
	v_mov_b32_e32 v6, v73                                      // 00000000CF64: 7E0C0349
	s_mov_b64 s[60:61], 0                                      // 00000000CF68: BEBC0180
	v_readlane_b32 s82, v3, 10                                 // 00000000CF6C: D2890052 00011503
	s_and_b32 s82, s82, 0xffffff                               // 00000000CF74: 8652FF52 00FFFFFF
	s_cmp_lt_u32 s82, s66                                      // 00000000CF7C: BF0A4252
	s_cselect_b32 s20, s36, s60                                // 00000000CF80: 85143C24
	v_readlane_b32 s82, v3, 11                                 // 00000000CF84: D2890052 00011703
	s_and_b32 s82, s82, 0xffffff                               // 00000000CF8C: 8652FF52 00FFFFFF
	s_cmp_lt_u32 s82, s66                                      // 00000000CF94: BF0A4252
	s_cselect_b32 s21, s36, s60                                // 00000000CF98: 85153C24
	s_mov_b64 exec, s[20:21]                                   // 00000000CF9C: BEFE0114
	global_atomic_add_f32 v6, v143, s[8:9] offset:8            // 00000000CFA0: DD348008 00088F06
	s_mov_b64 exec, s[36:37]                                   // 00000000CFA8: BEFE0124
	v_mov_b32_e32 v6, v74                                      // 00000000CFAC: 7E0C034A
	s_mov_b64 s[60:61], 0                                      // 00000000CFB0: BEBC0180
	v_readlane_b32 s82, v3, 12                                 // 00000000CFB4: D2890052 00011903
	s_and_b32 s82, s82, 0xffffff                               // 00000000CFBC: 8652FF52 00FFFFFF
	s_cmp_lt_u32 s82, s66                                      // 00000000CFC4: BF0A4252
	s_cselect_b32 s20, s36, s60                                // 00000000CFC8: 85143C24
	v_readlane_b32 s82, v3, 13                                 // 00000000CFCC: D2890052 00011B03
	s_and_b32 s82, s82, 0xffffff                               // 00000000CFD4: 8652FF52 00FFFFFF
	s_cmp_lt_u32 s82, s66                                      // 00000000CFDC: BF0A4252
	s_cselect_b32 s21, s36, s60                                // 00000000CFE0: 85153C24
	s_mov_b64 exec, s[20:21]                                   // 00000000CFE4: BEFE0114
	global_atomic_add_f32 v6, v146, s[8:9] offset:8            // 00000000CFE8: DD348008 00089206
	s_mov_b64 exec, s[36:37]                                   // 00000000CFF0: BEFE0124
	v_mov_b32_e32 v6, v75                                      // 00000000CFF4: 7E0C034B
	s_mov_b64 s[60:61], 0                                      // 00000000CFF8: BEBC0180
	v_readlane_b32 s82, v3, 14                                 // 00000000CFFC: D2890052 00011D03
	s_and_b32 s82, s82, 0xffffff                               // 00000000D004: 8652FF52 00FFFFFF
	s_cmp_lt_u32 s82, s66                                      // 00000000D00C: BF0A4252
	s_cselect_b32 s20, s36, s60                                // 00000000D010: 85143C24
	v_readlane_b32 s82, v3, 15                                 // 00000000D014: D2890052 00011F03
	s_and_b32 s82, s82, 0xffffff                               // 00000000D01C: 8652FF52 00FFFFFF
	s_cmp_lt_u32 s82, s66                                      // 00000000D024: BF0A4252
	s_cselect_b32 s21, s36, s60                                // 00000000D028: 85153C24
	s_mov_b64 exec, s[20:21]                                   // 00000000D02C: BEFE0114
	global_atomic_add_f32 v6, v147, s[8:9] offset:8            // 00000000D030: DD348008 00089306
	s_mov_b64 exec, s[36:37]                                   // 00000000D038: BEFE0124
	v_mov_b32_e32 v6, v76                                      // 00000000D03C: 7E0C034C
	s_mov_b64 s[60:61], 0                                      // 00000000D040: BEBC0180
	v_readlane_b32 s82, v3, 16                                 // 00000000D044: D2890052 00012103
	s_and_b32 s82, s82, 0xffffff                               // 00000000D04C: 8652FF52 00FFFFFF
	s_cmp_lt_u32 s82, s66                                      // 00000000D054: BF0A4252
	s_cselect_b32 s20, s36, s60                                // 00000000D058: 85143C24
	v_readlane_b32 s82, v3, 17                                 // 00000000D05C: D2890052 00012303
	s_and_b32 s82, s82, 0xffffff                               // 00000000D064: 8652FF52 00FFFFFF
	s_cmp_lt_u32 s82, s66                                      // 00000000D06C: BF0A4252
	s_cselect_b32 s21, s36, s60                                // 00000000D070: 85153C24
	s_mov_b64 exec, s[20:21]                                   // 00000000D074: BEFE0114
	global_atomic_add_f32 v6, v150, s[8:9] offset:8            // 00000000D078: DD348008 00089606
	s_mov_b64 exec, s[36:37]                                   // 00000000D080: BEFE0124
	v_mov_b32_e32 v6, v77                                      // 00000000D084: 7E0C034D
	s_mov_b64 s[60:61], 0                                      // 00000000D088: BEBC0180
	v_readlane_b32 s82, v3, 18                                 // 00000000D08C: D2890052 00012503
	s_and_b32 s82, s82, 0xffffff                               // 00000000D094: 8652FF52 00FFFFFF
	s_cmp_lt_u32 s82, s66                                      // 00000000D09C: BF0A4252
	s_cselect_b32 s20, s36, s60                                // 00000000D0A0: 85143C24
	v_readlane_b32 s82, v3, 19                                 // 00000000D0A4: D2890052 00012703
	s_and_b32 s82, s82, 0xffffff                               // 00000000D0AC: 8652FF52 00FFFFFF
	s_cmp_lt_u32 s82, s66                                      // 00000000D0B4: BF0A4252
	s_cselect_b32 s21, s36, s60                                // 00000000D0B8: 85153C24
	s_mov_b64 exec, s[20:21]                                   // 00000000D0BC: BEFE0114
	global_atomic_add_f32 v6, v151, s[8:9] offset:8            // 00000000D0C0: DD348008 00089706
	s_mov_b64 exec, s[36:37]                                   // 00000000D0C8: BEFE0124
	v_mov_b32_e32 v6, v78                                      // 00000000D0CC: 7E0C034E
	s_mov_b64 s[60:61], 0                                      // 00000000D0D0: BEBC0180
	v_readlane_b32 s82, v3, 20                                 // 00000000D0D4: D2890052 00012903
	s_and_b32 s82, s82, 0xffffff                               // 00000000D0DC: 8652FF52 00FFFFFF
	s_cmp_lt_u32 s82, s66                                      // 00000000D0E4: BF0A4252
	s_cselect_b32 s20, s36, s60                                // 00000000D0E8: 85143C24
	v_readlane_b32 s82, v3, 21                                 // 00000000D0EC: D2890052 00012B03
	s_and_b32 s82, s82, 0xffffff                               // 00000000D0F4: 8652FF52 00FFFFFF
	s_cmp_lt_u32 s82, s66                                      // 00000000D0FC: BF0A4252
	s_cselect_b32 s21, s36, s60                                // 00000000D100: 85153C24
	s_mov_b64 exec, s[20:21]                                   // 00000000D104: BEFE0114
	global_atomic_add_f32 v6, v154, s[8:9] offset:8            // 00000000D108: DD348008 00089A06
	s_mov_b64 exec, s[36:37]                                   // 00000000D110: BEFE0124
	v_mov_b32_e32 v6, v79                                      // 00000000D114: 7E0C034F
	s_mov_b64 s[60:61], 0                                      // 00000000D118: BEBC0180
	v_readlane_b32 s82, v3, 22                                 // 00000000D11C: D2890052 00012D03
	s_and_b32 s82, s82, 0xffffff                               // 00000000D124: 8652FF52 00FFFFFF
	s_cmp_lt_u32 s82, s66                                      // 00000000D12C: BF0A4252
	s_cselect_b32 s20, s36, s60                                // 00000000D130: 85143C24
	v_readlane_b32 s82, v3, 23                                 // 00000000D134: D2890052 00012F03
	s_and_b32 s82, s82, 0xffffff                               // 00000000D13C: 8652FF52 00FFFFFF
	s_cmp_lt_u32 s82, s66                                      // 00000000D144: BF0A4252
	s_cselect_b32 s21, s36, s60                                // 00000000D148: 85153C24
	s_mov_b64 exec, s[20:21]                                   // 00000000D14C: BEFE0114
	global_atomic_add_f32 v6, v155, s[8:9] offset:8            // 00000000D150: DD348008 00089B06
	s_mov_b64 exec, s[36:37]                                   // 00000000D158: BEFE0124
	v_mov_b32_e32 v6, v80                                      // 00000000D15C: 7E0C0350
	s_mov_b64 s[60:61], 0                                      // 00000000D160: BEBC0180
	v_readlane_b32 s82, v3, 24                                 // 00000000D164: D2890052 00013103
	s_and_b32 s82, s82, 0xffffff                               // 00000000D16C: 8652FF52 00FFFFFF
	s_cmp_lt_u32 s82, s66                                      // 00000000D174: BF0A4252
	s_cselect_b32 s20, s36, s60                                // 00000000D178: 85143C24
	v_readlane_b32 s82, v3, 25                                 // 00000000D17C: D2890052 00013303
	s_and_b32 s82, s82, 0xffffff                               // 00000000D184: 8652FF52 00FFFFFF
	s_cmp_lt_u32 s82, s66                                      // 00000000D18C: BF0A4252
	s_cselect_b32 s21, s36, s60                                // 00000000D190: 85153C24
	s_mov_b64 exec, s[20:21]                                   // 00000000D194: BEFE0114
	global_atomic_add_f32 v6, v158, s[8:9] offset:8            // 00000000D198: DD348008 00089E06
	s_mov_b64 exec, s[36:37]                                   // 00000000D1A0: BEFE0124
	v_mov_b32_e32 v6, v81                                      // 00000000D1A4: 7E0C0351
	s_mov_b64 s[60:61], 0                                      // 00000000D1A8: BEBC0180
	v_readlane_b32 s82, v3, 26                                 // 00000000D1AC: D2890052 00013503
	s_and_b32 s82, s82, 0xffffff                               // 00000000D1B4: 8652FF52 00FFFFFF
	s_cmp_lt_u32 s82, s66                                      // 00000000D1BC: BF0A4252
	s_cselect_b32 s20, s36, s60                                // 00000000D1C0: 85143C24
	v_readlane_b32 s82, v3, 27                                 // 00000000D1C4: D2890052 00013703
	s_and_b32 s82, s82, 0xffffff                               // 00000000D1CC: 8652FF52 00FFFFFF
	s_cmp_lt_u32 s82, s66                                      // 00000000D1D4: BF0A4252
	s_cselect_b32 s21, s36, s60                                // 00000000D1D8: 85153C24
	s_mov_b64 exec, s[20:21]                                   // 00000000D1DC: BEFE0114
	global_atomic_add_f32 v6, v159, s[8:9] offset:8            // 00000000D1E0: DD348008 00089F06
	s_mov_b64 exec, s[36:37]                                   // 00000000D1E8: BEFE0124
	v_mov_b32_e32 v6, v82                                      // 00000000D1EC: 7E0C0352
	s_mov_b64 s[60:61], 0                                      // 00000000D1F0: BEBC0180
	v_readlane_b32 s82, v3, 28                                 // 00000000D1F4: D2890052 00013903
	s_and_b32 s82, s82, 0xffffff                               // 00000000D1FC: 8652FF52 00FFFFFF
	s_cmp_lt_u32 s82, s66                                      // 00000000D204: BF0A4252
	s_cselect_b32 s20, s36, s60                                // 00000000D208: 85143C24
	v_readlane_b32 s82, v3, 29                                 // 00000000D20C: D2890052 00013B03
	s_and_b32 s82, s82, 0xffffff                               // 00000000D214: 8652FF52 00FFFFFF
	s_cmp_lt_u32 s82, s66                                      // 00000000D21C: BF0A4252
	s_cselect_b32 s21, s36, s60                                // 00000000D220: 85153C24
	s_mov_b64 exec, s[20:21]                                   // 00000000D224: BEFE0114
	global_atomic_add_f32 v6, v162, s[8:9] offset:8            // 00000000D228: DD348008 0008A206
	s_mov_b64 exec, s[36:37]                                   // 00000000D230: BEFE0124
	v_mov_b32_e32 v6, v83                                      // 00000000D234: 7E0C0353
	s_mov_b64 s[60:61], 0                                      // 00000000D238: BEBC0180
	v_readlane_b32 s82, v3, 30                                 // 00000000D23C: D2890052 00013D03
	s_and_b32 s82, s82, 0xffffff                               // 00000000D244: 8652FF52 00FFFFFF
	s_cmp_lt_u32 s82, s66                                      // 00000000D24C: BF0A4252
	s_cselect_b32 s20, s36, s60                                // 00000000D250: 85143C24
	v_readlane_b32 s82, v3, 31                                 // 00000000D254: D2890052 00013F03
	s_and_b32 s82, s82, 0xffffff                               // 00000000D25C: 8652FF52 00FFFFFF
	s_cmp_lt_u32 s82, s66                                      // 00000000D264: BF0A4252
	s_cselect_b32 s21, s36, s60                                // 00000000D268: 85153C24
	s_mov_b64 exec, s[20:21]                                   // 00000000D26C: BEFE0114
	global_atomic_add_f32 v6, v163, s[8:9] offset:8            // 00000000D270: DD348008 0008A306
	s_mov_b64 exec, s[36:37]                                   // 00000000D278: BEFE0124
	v_mov_b32_e32 v6, v84                                      // 00000000D27C: 7E0C0354
	s_mov_b64 s[60:61], 0                                      // 00000000D280: BEBC0180
	v_readlane_b32 s82, v3, 32                                 // 00000000D284: D2890052 00014103
	s_and_b32 s82, s82, 0xffffff                               // 00000000D28C: 8652FF52 00FFFFFF
	s_cmp_lt_u32 s82, s66                                      // 00000000D294: BF0A4252
	s_cselect_b32 s20, s36, s60                                // 00000000D298: 85143C24
	v_readlane_b32 s82, v3, 33                                 // 00000000D29C: D2890052 00014303
	s_and_b32 s82, s82, 0xffffff                               // 00000000D2A4: 8652FF52 00FFFFFF
	s_cmp_lt_u32 s82, s66                                      // 00000000D2AC: BF0A4252
	s_cselect_b32 s21, s36, s60                                // 00000000D2B0: 85153C24
	s_mov_b64 exec, s[20:21]                                   // 00000000D2B4: BEFE0114
	global_atomic_add_f32 v6, v166, s[8:9] offset:8            // 00000000D2B8: DD348008 0008A606
	s_mov_b64 exec, s[36:37]                                   // 00000000D2C0: BEFE0124
	v_mov_b32_e32 v6, v85                                      // 00000000D2C4: 7E0C0355
	s_mov_b64 s[60:61], 0                                      // 00000000D2C8: BEBC0180
	v_readlane_b32 s82, v3, 34                                 // 00000000D2CC: D2890052 00014503
	s_and_b32 s82, s82, 0xffffff                               // 00000000D2D4: 8652FF52 00FFFFFF
	s_cmp_lt_u32 s82, s66                                      // 00000000D2DC: BF0A4252
	s_cselect_b32 s20, s36, s60                                // 00000000D2E0: 85143C24
	v_readlane_b32 s82, v3, 35                                 // 00000000D2E4: D2890052 00014703
	s_and_b32 s82, s82, 0xffffff                               // 00000000D2EC: 8652FF52 00FFFFFF
	s_cmp_lt_u32 s82, s66                                      // 00000000D2F4: BF0A4252
	s_cselect_b32 s21, s36, s60                                // 00000000D2F8: 85153C24
	s_mov_b64 exec, s[20:21]                                   // 00000000D2FC: BEFE0114
	global_atomic_add_f32 v6, v167, s[8:9] offset:8            // 00000000D300: DD348008 0008A706
	s_mov_b64 exec, s[36:37]                                   // 00000000D308: BEFE0124
	v_mov_b32_e32 v6, v86                                      // 00000000D30C: 7E0C0356
	s_mov_b64 s[60:61], 0                                      // 00000000D310: BEBC0180
	v_readlane_b32 s82, v3, 36                                 // 00000000D314: D2890052 00014903
	s_and_b32 s82, s82, 0xffffff                               // 00000000D31C: 8652FF52 00FFFFFF
	s_cmp_lt_u32 s82, s66                                      // 00000000D324: BF0A4252
	s_cselect_b32 s20, s36, s60                                // 00000000D328: 85143C24
	v_readlane_b32 s82, v3, 37                                 // 00000000D32C: D2890052 00014B03
	s_and_b32 s82, s82, 0xffffff                               // 00000000D334: 8652FF52 00FFFFFF
	s_cmp_lt_u32 s82, s66                                      // 00000000D33C: BF0A4252
	s_cselect_b32 s21, s36, s60                                // 00000000D340: 85153C24
	s_mov_b64 exec, s[20:21]                                   // 00000000D344: BEFE0114
	global_atomic_add_f32 v6, v170, s[8:9] offset:8            // 00000000D348: DD348008 0008AA06
	s_mov_b64 exec, s[36:37]                                   // 00000000D350: BEFE0124
	v_mov_b32_e32 v6, v87                                      // 00000000D354: 7E0C0357
	s_mov_b64 s[60:61], 0                                      // 00000000D358: BEBC0180
	v_readlane_b32 s82, v3, 38                                 // 00000000D35C: D2890052 00014D03
	s_and_b32 s82, s82, 0xffffff                               // 00000000D364: 8652FF52 00FFFFFF
	s_cmp_lt_u32 s82, s66                                      // 00000000D36C: BF0A4252
	s_cselect_b32 s20, s36, s60                                // 00000000D370: 85143C24
	v_readlane_b32 s82, v3, 39                                 // 00000000D374: D2890052 00014F03
	s_and_b32 s82, s82, 0xffffff                               // 00000000D37C: 8652FF52 00FFFFFF
	s_cmp_lt_u32 s82, s66                                      // 00000000D384: BF0A4252
	s_cselect_b32 s21, s36, s60                                // 00000000D388: 85153C24
	s_mov_b64 exec, s[20:21]                                   // 00000000D38C: BEFE0114
	global_atomic_add_f32 v6, v171, s[8:9] offset:8            // 00000000D390: DD348008 0008AB06
	s_mov_b64 exec, s[36:37]                                   // 00000000D398: BEFE0124
	s_branch label_2A6B                                        // 00000000D39C: BF820000

000000000000d3a0 <label_2A6B>:
	s_waitcnt vmcnt(0) expcnt(0) lgkmcnt(0)                    // 00000000D3A0: BF8C0000
	s_endpgm                                                   // 00000000D3A4: BF810000
